;; amdgpu-corpus repo=ROCm/rocFFT kind=compiled arch=gfx1030 opt=O3
	.text
	.amdgcn_target "amdgcn-amd-amdhsa--gfx1030"
	.amdhsa_code_object_version 6
	.protected	bluestein_single_back_len3888_dim1_dp_op_CI_CI ; -- Begin function bluestein_single_back_len3888_dim1_dp_op_CI_CI
	.globl	bluestein_single_back_len3888_dim1_dp_op_CI_CI
	.p2align	8
	.type	bluestein_single_back_len3888_dim1_dp_op_CI_CI,@function
bluestein_single_back_len3888_dim1_dp_op_CI_CI: ; @bluestein_single_back_len3888_dim1_dp_op_CI_CI
; %bb.0:
	s_mov_b64 s[26:27], s[2:3]
	s_mov_b64 s[24:25], s[0:1]
	s_load_dwordx4 s[0:3], s[4:5], 0x28
	v_mul_u32_u24_e32 v1, 0x195, v0
	v_mov_b32_e32 v255, 0
	s_add_u32 s24, s24, s7
	s_addc_u32 s25, s25, 0
	v_lshrrev_b32_e32 v1, 17, v1
	v_add_nc_u32_e32 v254, s6, v1
	s_waitcnt lgkmcnt(0)
	v_cmp_gt_u64_e32 vcc_lo, s[0:1], v[254:255]
	s_and_saveexec_b32 s0, vcc_lo
	s_cbranch_execz .LBB0_15
; %bb.1:
	s_clause 0x1
	s_load_dwordx2 s[14:15], s[4:5], 0x0
	s_load_dwordx2 s[12:13], s[4:5], 0x38
	v_mul_lo_u16 v1, 0x144, v1
	v_sub_nc_u16 v0, v0, v1
	v_and_b32_e32 v226, 0xffff, v0
	v_cmp_gt_u16_e32 vcc_lo, 0xf3, v0
	v_lshlrev_b32_e32 v225, 4, v226
	s_and_saveexec_b32 s1, vcc_lo
	s_cbranch_execz .LBB0_3
; %bb.2:
	s_load_dwordx2 s[6:7], s[4:5], 0x18
	s_waitcnt lgkmcnt(0)
	v_add_co_u32 v4, s0, s14, v225
	v_add_co_ci_u32_e64 v5, null, s15, 0, s0
	global_load_dwordx4 v[0:3], v225, s[14:15]
	v_add_co_u32 v6, s0, 0x800, v4
	v_add_co_ci_u32_e64 v7, s0, 0, v5, s0
	v_add_co_u32 v10, s0, 0x1800, v4
	v_add_co_ci_u32_e64 v11, s0, 0, v5, s0
	;; [unrolled: 2-line block ×3, first 2 shown]
	v_add_co_u32 v18, s0, 0x3800, v4
	s_load_dwordx4 s[8:11], s[6:7], 0x0
	v_add_co_ci_u32_e64 v19, s0, 0, v5, s0
	v_add_co_u32 v22, s0, 0x4800, v4
	v_add_co_ci_u32_e64 v23, s0, 0, v5, s0
	v_add_co_u32 v26, s0, 0x5800, v4
	;; [unrolled: 2-line block ×5, first 2 shown]
	s_waitcnt lgkmcnt(0)
	v_mad_u64_u32 v[24:25], null, s10, v254, 0
	v_mad_u64_u32 v[28:29], null, s8, v226, 0
	v_add_co_ci_u32_e64 v39, s0, 0, v5, s0
	v_add_co_u32 v86, s0, 0x9000, v4
	v_mov_b32_e32 v8, v25
	v_add_co_ci_u32_e64 v87, s0, 0, v5, s0
	v_mov_b32_e32 v9, v29
	s_mul_i32 s6, s9, 0xf30
	s_mul_hi_u32 s7, s8, 0xf30
	s_add_i32 s7, s7, s6
	v_mad_u64_u32 v[12:13], null, s11, v254, v[8:9]
	v_mad_u64_u32 v[32:33], null, s9, v226, v[9:10]
	global_load_dwordx4 v[6:9], v[6:7], off offset:1840
	v_mov_b32_e32 v25, v12
	s_clause 0x2
	global_load_dwordx4 v[10:13], v[10:11], off offset:1632
	global_load_dwordx4 v[14:17], v[14:15], off offset:1424
	;; [unrolled: 1-line block ×3, first 2 shown]
	v_mov_b32_e32 v29, v32
	s_clause 0x1
	global_load_dwordx4 v[38:41], v[38:39], off offset:176
	global_load_dwordx4 v[34:37], v[34:35], off offset:384
	v_lshlrev_b64 v[32:33], 4, v[24:25]
	global_load_dwordx4 v[22:25], v[22:23], off offset:1008
	v_lshlrev_b64 v[28:29], 4, v[28:29]
	v_add_co_u32 v32, s0, s2, v32
	v_add_co_ci_u32_e64 v33, s0, s3, v33, s0
	s_mul_i32 s2, s8, 0xf30
	v_add_co_u32 v42, s0, v32, v28
	v_add_co_ci_u32_e64 v43, s0, v33, v29, s0
	global_load_dwordx4 v[26:29], v[26:27], off offset:800
	v_add_co_u32 v46, s0, v42, s2
	v_add_co_ci_u32_e64 v47, s0, s7, v43, s0
	global_load_dwordx4 v[30:33], v[30:31], off offset:592
	v_add_co_u32 v50, s0, v46, s2
	v_add_co_ci_u32_e64 v51, s0, s7, v47, s0
	s_clause 0x1
	global_load_dwordx4 v[42:45], v[42:43], off
	global_load_dwordx4 v[46:49], v[46:47], off
	v_add_co_u32 v54, s0, v50, s2
	v_add_co_ci_u32_e64 v55, s0, s7, v51, s0
	global_load_dwordx4 v[50:53], v[50:51], off
	v_add_co_u32 v58, s0, v54, s2
	v_add_co_ci_u32_e64 v59, s0, s7, v55, s0
	;; [unrolled: 3-line block ×5, first 2 shown]
	v_add_co_u32 v74, s0, v70, s2
	v_add_co_ci_u32_e64 v75, s0, s7, v71, s0
	v_add_co_u32 v78, s0, v74, s2
	v_add_co_ci_u32_e64 v79, s0, s7, v75, s0
	;; [unrolled: 2-line block ×3, first 2 shown]
	global_load_dwordx4 v[66:69], v[66:67], off
	global_load_dwordx4 v[70:73], v[70:71], off
	global_load_dwordx4 v[74:77], v[74:75], off
	global_load_dwordx4 v[78:81], v[78:79], off
	global_load_dwordx4 v[82:85], v[90:91], off
	global_load_dwordx4 v[86:89], v[86:87], off offset:2016
	v_add_co_u32 v90, s0, v90, s2
	v_add_co_ci_u32_e64 v91, s0, s7, v91, s0
	v_add_co_u32 v94, s0, 0xa000, v4
	v_add_co_ci_u32_e64 v95, s0, 0, v5, s0
	;; [unrolled: 2-line block ×9, first 2 shown]
	v_add_co_u32 v126, s0, v114, s2
	global_load_dwordx4 v[90:93], v[90:91], off
	global_load_dwordx4 v[94:97], v[94:95], off offset:1808
	global_load_dwordx4 v[98:101], v[98:99], off
	global_load_dwordx4 v[102:105], v[102:103], off offset:1600
	global_load_dwordx4 v[106:109], v[110:111], off
	v_add_co_ci_u32_e64 v127, s0, s7, v115, s0
	global_load_dwordx4 v[110:113], v[112:113], off offset:1392
	global_load_dwordx4 v[114:117], v[114:115], off
	s_clause 0x1
	global_load_dwordx4 v[118:121], v[118:119], off offset:1184
	global_load_dwordx4 v[122:125], v[4:5], off offset:976
	global_load_dwordx4 v[126:129], v[126:127], off
	s_waitcnt vmcnt(21)
	v_mul_f64 v[4:5], v[44:45], v[2:3]
	v_mul_f64 v[130:131], v[42:43], v[2:3]
	s_waitcnt vmcnt(20)
	v_mul_f64 v[132:133], v[48:49], v[8:9]
	v_mul_f64 v[8:9], v[46:47], v[8:9]
	;; [unrolled: 3-line block ×5, first 2 shown]
	v_fma_f64 v[2:3], v[42:43], v[0:1], v[4:5]
	v_fma_f64 v[4:5], v[44:45], v[0:1], -v[130:131]
	s_waitcnt vmcnt(16)
	v_mul_f64 v[0:1], v[64:65], v[24:25]
	v_mul_f64 v[24:25], v[62:63], v[24:25]
	v_fma_f64 v[42:43], v[46:47], v[6:7], v[132:133]
	v_fma_f64 v[44:45], v[48:49], v[6:7], -v[8:9]
	v_fma_f64 v[6:7], v[50:51], v[10:11], v[134:135]
	v_fma_f64 v[8:9], v[52:53], v[10:11], -v[12:13]
	;; [unrolled: 2-line block ×3, first 2 shown]
	s_waitcnt vmcnt(15)
	v_mul_f64 v[46:47], v[68:69], v[28:29]
	v_mul_f64 v[28:29], v[66:67], v[28:29]
	s_waitcnt vmcnt(14)
	v_mul_f64 v[48:49], v[72:73], v[32:33]
	v_mul_f64 v[32:33], v[70:71], v[32:33]
	;; [unrolled: 3-line block ×5, first 2 shown]
	v_fma_f64 v[14:15], v[58:59], v[18:19], v[138:139]
	v_fma_f64 v[16:17], v[60:61], v[18:19], -v[20:21]
	v_fma_f64 v[18:19], v[62:63], v[22:23], v[0:1]
	v_fma_f64 v[20:21], v[64:65], v[22:23], -v[24:25]
	;; [unrolled: 2-line block ×7, first 2 shown]
	s_waitcnt vmcnt(8)
	v_mul_f64 v[58:59], v[92:93], v[96:97]
	v_mul_f64 v[60:61], v[90:91], v[96:97]
	s_waitcnt vmcnt(6)
	v_mul_f64 v[88:89], v[100:101], v[104:105]
	v_mul_f64 v[96:97], v[98:99], v[104:105]
	;; [unrolled: 3-line block ×5, first 2 shown]
	v_fma_f64 v[46:47], v[90:91], v[94:95], v[58:59]
	v_fma_f64 v[48:49], v[92:93], v[94:95], -v[60:61]
	v_fma_f64 v[50:51], v[98:99], v[102:103], v[88:89]
	v_fma_f64 v[52:53], v[100:101], v[102:103], -v[96:97]
	;; [unrolled: 2-line block ×5, first 2 shown]
	ds_write_b128 v225, v[2:5]
	ds_write_b128 v225, v[42:45] offset:3888
	ds_write_b128 v225, v[6:9] offset:7776
	;; [unrolled: 1-line block ×15, first 2 shown]
.LBB0_3:
	s_or_b32 exec_lo, exec_lo, s1
	s_clause 0x1
	s_load_dwordx2 s[0:1], s[4:5], 0x20
	s_load_dwordx2 s[2:3], s[4:5], 0x8
	s_waitcnt lgkmcnt(0)
	s_barrier
	buffer_gl0_inv
                                        ; implicit-def: $vgpr44_vgpr45
                                        ; implicit-def: $vgpr12_vgpr13
                                        ; implicit-def: $vgpr28_vgpr29
                                        ; implicit-def: $vgpr56_vgpr57
                                        ; implicit-def: $vgpr60_vgpr61
                                        ; implicit-def: $vgpr48_vgpr49
                                        ; implicit-def: $vgpr52_vgpr53
                                        ; implicit-def: $vgpr36_vgpr37
                                        ; implicit-def: $vgpr40_vgpr41
                                        ; implicit-def: $vgpr32_vgpr33
                                        ; implicit-def: $vgpr20_vgpr21
                                        ; implicit-def: $vgpr16_vgpr17
                                        ; implicit-def: $vgpr24_vgpr25
                                        ; implicit-def: $vgpr8_vgpr9
                                        ; implicit-def: $vgpr4_vgpr5
                                        ; implicit-def: $vgpr0_vgpr1
	s_and_saveexec_b32 s4, vcc_lo
	s_cbranch_execz .LBB0_5
; %bb.4:
	ds_read_b128 v[0:3], v225 offset:3888
	ds_read_b128 v[4:7], v225 offset:7776
	;; [unrolled: 1-line block ×14, first 2 shown]
	ds_read_b128 v[44:47], v225
	ds_read_b128 v[56:59], v225 offset:58320
.LBB0_5:
	s_or_b32 exec_lo, exec_lo, s4
	s_waitcnt lgkmcnt(1)
	v_add_f64 v[32:33], v[44:45], -v[32:33]
	v_add_f64 v[34:35], v[46:47], -v[34:35]
	v_add_f64 v[52:53], v[24:25], -v[52:53]
	v_add_f64 v[54:55], v[26:27], -v[54:55]
	v_add_f64 v[40:41], v[4:5], -v[40:41]
	v_add_f64 v[42:43], v[6:7], -v[42:43]
	v_add_f64 v[60:61], v[12:13], -v[60:61]
	v_add_f64 v[62:63], v[14:15], -v[62:63]
	v_add_f64 v[64:65], v[0:1], -v[28:29]
	v_add_f64 v[30:31], v[2:3], -v[30:31]
	v_add_f64 v[48:49], v[16:17], -v[48:49]
	v_add_f64 v[50:51], v[18:19], -v[50:51]
	v_add_f64 v[36:37], v[8:9], -v[36:37]
	v_add_f64 v[38:39], v[10:11], -v[38:39]
	s_waitcnt lgkmcnt(0)
	v_add_f64 v[58:59], v[22:23], -v[58:59]
	v_add_f64 v[56:57], v[20:21], -v[56:57]
	s_mov_b32 s4, 0x667f3bcd
	s_mov_b32 s5, 0xbfe6a09e
	;; [unrolled: 1-line block ×6, first 2 shown]
	v_fma_f64 v[44:45], v[44:45], 2.0, -v[32:33]
	v_fma_f64 v[66:67], v[46:47], 2.0, -v[34:35]
	;; [unrolled: 1-line block ×5, first 2 shown]
	v_add_f64 v[4:5], v[32:33], -v[54:55]
	v_add_f64 v[24:25], v[34:35], v[52:53]
	v_add_f64 v[52:53], v[40:41], -v[62:63]
	v_add_f64 v[54:55], v[60:61], v[42:43]
	v_fma_f64 v[76:77], v[6:7], 2.0, -v[42:43]
	v_add_f64 v[28:29], v[48:49], v[30:31]
	v_add_f64 v[26:27], v[64:65], -v[50:51]
	v_fma_f64 v[60:61], v[12:13], 2.0, -v[60:61]
	v_fma_f64 v[14:15], v[14:15], 2.0, -v[62:63]
	v_add_f64 v[72:73], v[36:37], -v[58:59]
	v_add_f64 v[74:75], v[56:57], v[38:39]
	v_fma_f64 v[62:63], v[0:1], 2.0, -v[64:65]
	v_fma_f64 v[78:79], v[2:3], 2.0, -v[30:31]
	;; [unrolled: 1-line block ×8, first 2 shown]
	v_add_f64 v[12:13], v[44:45], -v[46:47]
	s_mov_b32 s9, 0x3fd87de2
	s_mov_b32 s11, 0xbfed906b
	v_fma_f64 v[0:1], v[32:33], 2.0, -v[4:5]
	v_fma_f64 v[2:3], v[34:35], 2.0, -v[24:25]
	;; [unrolled: 1-line block ×4, first 2 shown]
	s_mov_b32 s17, 0x3fed906b
	v_fma_f64 v[8:9], v[30:31], 2.0, -v[28:29]
	v_fma_f64 v[6:7], v[64:65], 2.0, -v[26:27]
	v_add_f64 v[60:61], v[70:71], -v[60:61]
	v_add_f64 v[14:15], v[76:77], -v[14:15]
	v_fma_f64 v[56:57], v[36:37], 2.0, -v[72:73]
	v_fma_f64 v[58:59], v[38:39], 2.0, -v[74:75]
	v_add_f64 v[38:39], v[66:67], -v[68:69]
	v_fma_f64 v[64:65], v[72:73], s[6:7], v[26:27]
	v_add_f64 v[40:41], v[62:63], -v[16:17]
	v_add_f64 v[46:47], v[78:79], -v[18:19]
	v_fma_f64 v[18:19], v[52:53], s[6:7], v[4:5]
	v_fma_f64 v[86:87], v[74:75], s[6:7], v[28:29]
	v_add_f64 v[16:17], v[48:49], -v[20:21]
	v_add_f64 v[22:23], v[10:11], -v[22:23]
	v_fma_f64 v[20:21], v[54:55], s[6:7], v[24:25]
	v_fma_f64 v[30:31], v[44:45], 2.0, -v[12:13]
	s_mov_b32 s16, s10
	s_mov_b32 s19, 0xbfd87de2
	;; [unrolled: 1-line block ×3, first 2 shown]
	v_fma_f64 v[68:69], v[50:51], s[4:5], v[0:1]
	v_fma_f64 v[80:81], v[42:43], s[4:5], v[2:3]
	v_lshlrev_b16 v224, 4, v226
	s_barrier
	v_fma_f64 v[44:45], v[70:71], 2.0, -v[60:61]
	v_fma_f64 v[70:71], v[76:77], 2.0, -v[14:15]
	v_fma_f64 v[82:83], v[56:57], s[4:5], v[6:7]
	v_fma_f64 v[84:85], v[58:59], s[4:5], v[8:9]
	v_fma_f64 v[34:35], v[66:67], 2.0, -v[38:39]
	v_fma_f64 v[64:65], v[74:75], s[4:5], v[64:65]
	v_fma_f64 v[32:33], v[62:63], 2.0, -v[40:41]
	v_fma_f64 v[36:37], v[78:79], 2.0, -v[46:47]
	v_fma_f64 v[18:19], v[54:55], s[4:5], v[18:19]
	v_fma_f64 v[66:67], v[72:73], s[6:7], v[86:87]
	v_fma_f64 v[48:49], v[48:49], 2.0, -v[16:17]
	v_fma_f64 v[76:77], v[10:11], 2.0, -v[22:23]
	v_add_f64 v[10:11], v[12:13], -v[14:15]
	v_add_f64 v[14:15], v[38:39], v[60:61]
	v_fma_f64 v[20:21], v[52:53], s[6:7], v[20:21]
	v_add_f64 v[60:61], v[40:41], -v[22:23]
	v_add_f64 v[62:63], v[16:17], v[46:47]
	v_fma_f64 v[16:17], v[42:43], s[4:5], v[68:69]
	v_fma_f64 v[22:23], v[50:51], s[6:7], v[80:81]
	buffer_gl0_inv
	v_add_f64 v[42:43], v[30:31], -v[44:45]
	v_fma_f64 v[54:55], v[58:59], s[4:5], v[82:83]
	v_fma_f64 v[56:57], v[56:57], s[6:7], v[84:85]
	v_add_f64 v[44:45], v[34:35], -v[70:71]
	v_add_f64 v[52:53], v[32:33], -v[48:49]
	;; [unrolled: 1-line block ×3, first 2 shown]
	v_fma_f64 v[76:77], v[64:65], s[16:17], v[18:19]
	v_fma_f64 v[82:83], v[66:67], s[16:17], v[20:21]
	;; [unrolled: 1-line block ×6, first 2 shown]
	v_add_f64 v[50:51], v[44:45], v[52:53]
	v_add_f64 v[48:49], v[42:43], -v[58:59]
	v_fma_f64 v[76:77], v[66:67], s[18:19], v[76:77]
	v_fma_f64 v[72:73], v[62:63], s[4:5], v[68:69]
	;; [unrolled: 1-line block ×6, first 2 shown]
	s_and_saveexec_b32 s20, vcc_lo
	s_cbranch_execz .LBB0_7
; %bb.6:
	v_fma_f64 v[80:81], v[24:25], 2.0, -v[20:21]
	v_fma_f64 v[66:67], v[28:29], 2.0, -v[66:67]
	;; [unrolled: 1-line block ×19, first 2 shown]
	v_fma_f64 v[6:7], v[66:67], s[18:19], v[80:81]
	v_fma_f64 v[30:31], v[8:9], s[10:11], v[40:41]
	;; [unrolled: 1-line block ×6, first 2 shown]
	v_add_f64 v[2:3], v[46:47], -v[0:1]
	v_add_f64 v[0:1], v[54:55], -v[4:5]
	v_fma_f64 v[6:7], v[24:25], s[16:17], v[6:7]
	v_fma_f64 v[30:31], v[28:29], s[8:9], v[30:31]
	v_fma_f64 v[28:29], v[8:9], s[18:19], v[32:33]
	v_fma_f64 v[32:33], v[16:17], 2.0, -v[68:69]
	v_fma_f64 v[26:27], v[26:27], s[6:7], v[12:13]
	v_fma_f64 v[24:25], v[38:39], s[4:5], v[34:35]
	;; [unrolled: 1-line block ×3, first 2 shown]
	v_fma_f64 v[38:39], v[44:45], 2.0, -v[50:51]
	v_fma_f64 v[36:37], v[42:43], 2.0, -v[48:49]
	;; [unrolled: 1-line block ×6, first 2 shown]
	v_mov_b32_e32 v8, 4
	v_lshlrev_b32_sdwa v8, v8, v224 dst_sel:DWORD dst_unused:UNUSED_PAD src0_sel:DWORD src1_sel:WORD_0
	v_fma_f64 v[42:43], v[80:81], 2.0, -v[6:7]
	v_fma_f64 v[54:55], v[40:41], 2.0, -v[30:31]
	;; [unrolled: 1-line block ×6, first 2 shown]
	ds_write_b128 v8, v[48:51] offset:192
	ds_write_b128 v8, v[68:71] offset:208
	;; [unrolled: 1-line block ×8, first 2 shown]
	ds_write_b128 v8, v[14:17]
	ds_write_b128 v8, v[28:31] offset:144
	ds_write_b128 v8, v[24:27] offset:160
	;; [unrolled: 1-line block ×7, first 2 shown]
.LBB0_7:
	s_or_b32 exec_lo, exec_lo, s20
	v_and_b32_e32 v32, 15, v226
	s_load_dwordx4 s[4:7], s[0:1], 0x0
	s_waitcnt lgkmcnt(0)
	s_barrier
	buffer_gl0_inv
	v_lshlrev_b32_e32 v0, 5, v32
	v_add_co_u32 v152, s0, 0x144, v226
	v_add_co_u32 v160, null, 0x288, v226
	s_clause 0x1
	global_load_dwordx4 v[4:7], v0, s[2:3]
	global_load_dwordx4 v[0:3], v0, s[2:3] offset:16
	v_add_co_u32 v168, null, 0x3cc, v226
	v_and_b32_e32 v33, 15, v152
	v_and_b32_e32 v35, 15, v160
	v_mov_b32_e32 v138, 4
	v_and_b32_e32 v34, 15, v168
	v_lshrrev_b32_e32 v36, 4, v226
	v_lshlrev_b32_e32 v8, 5, v33
	v_lshlrev_b32_e32 v9, 5, v35
	v_mov_b32_e32 v37, 0xaaab
	v_lshlrev_b32_sdwa v227, v138, v226 dst_sel:DWORD dst_unused:UNUSED_PAD src0_sel:DWORD src1_sel:WORD_0
	v_lshlrev_b32_e32 v24, 5, v34
	s_clause 0x5
	global_load_dwordx4 v[20:23], v8, s[2:3]
	global_load_dwordx4 v[16:19], v8, s[2:3] offset:16
	global_load_dwordx4 v[12:15], v9, s[2:3]
	global_load_dwordx4 v[8:11], v9, s[2:3] offset:16
	;; [unrolled: 2-line block ×3, first 2 shown]
	v_mul_u32_u24_e32 v80, 48, v36
	v_mul_u32_u24_sdwa v104, v226, v37 dst_sel:DWORD dst_unused:UNUSED_PAD src0_sel:WORD_0 src1_sel:DWORD
	v_mul_u32_u24_sdwa v105, v152, v37 dst_sel:DWORD dst_unused:UNUSED_PAD src0_sel:WORD_0 src1_sel:DWORD
	;; [unrolled: 1-line block ×4, first 2 shown]
	ds_read_b128 v[36:39], v227 offset:20736
	ds_read_b128 v[40:43], v227 offset:41472
	;; [unrolled: 1-line block ×10, first 2 shown]
	ds_read_b128 v[96:99], v227
	ds_read_b128 v[100:103], v227 offset:57024
	v_lshrrev_b32_e32 v81, 4, v152
	v_or_b32_e32 v32, v80, v32
	v_lshrrev_b32_e32 v80, 21, v104
	v_lshrrev_b32_e32 v82, 4, v160
	v_lshrrev_b32_e32 v83, 4, v168
	v_mul_u32_u24_e32 v108, 48, v81
	v_lshrrev_b32_e32 v81, 21, v105
	s_waitcnt vmcnt(0) lgkmcnt(0)
	v_mul_u32_u24_e32 v109, 48, v82
	v_mul_u32_u24_e32 v135, 48, v83
	s_barrier
	buffer_gl0_inv
	v_or_b32_e32 v136, v108, v33
	v_or_b32_e32 v137, v109, v35
	;; [unrolled: 1-line block ×3, first 2 shown]
	v_lshrrev_b32_e32 v82, 21, v106
	v_lshrrev_b32_e32 v83, 21, v107
	v_lshlrev_b32_e32 v232, 4, v32
	v_mul_lo_u16 v139, v80, 48
	v_mul_lo_u16 v140, v81, 48
	;; [unrolled: 1-line block ×4, first 2 shown]
	v_lshlrev_b32_e32 v233, 4, v136
	v_lshlrev_b32_e32 v235, 4, v135
	s_mov_b32 s8, 0xe8584caa
	s_mov_b32 s9, 0x3febb67a
	;; [unrolled: 1-line block ×4, first 2 shown]
	v_add_co_ci_u32_e64 v120, null, 0, 0, s0
	v_lshlrev_b32_e32 v234, 4, v137
	v_mul_f64 v[32:33], v[38:39], v[6:7]
	v_mul_f64 v[104:105], v[42:43], v[2:3]
	;; [unrolled: 1-line block ×14, first 2 shown]
	v_fma_f64 v[34:35], v[40:41], v[0:1], -v[104:105]
	buffer_store_dword v0, off, s[24:27], 0 ; 4-byte Folded Spill
	buffer_store_dword v1, off, s[24:27], 0 offset:4 ; 4-byte Folded Spill
	buffer_store_dword v2, off, s[24:27], 0 offset:8 ; 4-byte Folded Spill
	;; [unrolled: 1-line block ×3, first 2 shown]
	v_mul_f64 v[131:132], v[92:93], v[30:31]
	v_mul_f64 v[133:134], v[100:101], v[26:27]
	v_fma_f64 v[32:33], v[36:37], v[4:5], -v[32:33]
	v_fma_f64 v[36:37], v[38:39], v[4:5], v[106:107]
	v_fma_f64 v[60:61], v[60:61], v[12:13], -v[118:119]
	v_fma_f64 v[40:41], v[56:57], v[20:21], -v[110:111]
	v_fma_f64 v[56:57], v[58:59], v[20:21], v[114:115]
	v_fma_f64 v[58:59], v[66:67], v[16:17], v[116:117]
	;; [unrolled: 1-line block ×4, first 2 shown]
	v_fma_f64 v[92:93], v[92:93], v[28:29], -v[127:128]
	v_fma_f64 v[100:101], v[100:101], v[24:25], -v[129:130]
	v_sub_nc_u16 v86, v160, v141
	v_sub_nc_u16 v87, v168, v142
	v_fma_f64 v[94:95], v[94:95], v[28:29], v[131:132]
	v_fma_f64 v[102:103], v[102:103], v[24:25], v[133:134]
	v_add_f64 v[104:105], v[32:33], v[34:35]
	v_add_f64 v[114:115], v[96:97], v[32:33]
	v_add_f64 v[125:126], v[32:33], -v[34:35]
	v_lshlrev_b16 v147, 5, v86
	v_lshlrev_b16 v148, 5, v87
	v_add_f64 v[131:132], v[52:53], v[60:61]
	v_add_f64 v[127:128], v[44:45], v[40:41]
	;; [unrolled: 1-line block ×6, first 2 shown]
	v_add_f64 v[141:142], v[62:63], -v[66:67]
	v_add_f64 v[135:136], v[88:89], v[92:93]
	v_add_f64 v[123:124], v[94:95], v[102:103]
	v_fma_f64 v[96:97], v[104:105], -0.5, v[96:97]
	v_add_f64 v[104:105], v[56:57], -v[58:59]
	v_add_f64 v[145:146], v[94:95], -v[102:103]
	v_add_f64 v[32:33], v[114:115], v[34:35]
	v_fma_f64 v[110:111], v[110:111], -0.5, v[46:47]
	v_fma_f64 v[114:115], v[123:124], -0.5, v[90:91]
	v_fma_f64 v[38:39], v[42:43], v[0:1], v[108:109]
	v_fma_f64 v[42:43], v[64:65], v[16:17], -v[112:113]
	v_fma_f64 v[64:65], v[84:85], v[8:9], -v[121:122]
	v_sub_nc_u16 v84, v226, v139
	v_add_f64 v[121:122], v[92:93], v[100:101]
	v_sub_nc_u16 v85, v152, v140
	v_add_f64 v[139:140], v[90:91], v[94:95]
	v_fma_f64 v[94:95], v[116:117], -0.5, v[54:55]
	v_lshlrev_b16 v112, 5, v84
	v_add_f64 v[116:117], v[92:93], -v[100:101]
	v_lshlrev_b16 v137, 5, v85
	v_and_b32_e32 v149, 0xffff, v112
	v_add_f64 v[106:107], v[36:37], v[38:39]
	v_add_f64 v[108:109], v[40:41], v[42:43]
	;; [unrolled: 1-line block ×3, first 2 shown]
	v_add_f64 v[118:119], v[36:37], -v[38:39]
	v_add_f64 v[36:37], v[98:99], v[36:37]
	v_add_f64 v[143:144], v[60:61], -v[64:65]
	v_fma_f64 v[121:122], v[121:122], -0.5, v[88:89]
	v_add_f64 v[46:47], v[139:140], v[102:103]
	v_fma_f64 v[102:103], v[116:117], s[8:9], v[114:115]
	v_fma_f64 v[98:99], v[106:107], -0.5, v[98:99]
	v_add_f64 v[106:107], v[40:41], -v[42:43]
	v_fma_f64 v[108:109], v[108:109], -0.5, v[44:45]
	v_fma_f64 v[112:113], v[112:113], -0.5, v[52:53]
	v_add_f64 v[34:35], v[36:37], v[38:39]
	v_fma_f64 v[52:53], v[118:119], s[8:9], v[96:97]
	v_add_f64 v[38:39], v[129:130], v[58:59]
	v_fma_f64 v[56:57], v[118:119], s[10:11], v[96:97]
	v_add_f64 v[36:37], v[127:128], v[42:43]
	v_add_f64 v[40:41], v[131:132], v[64:65]
	;; [unrolled: 1-line block ×3, first 2 shown]
	v_fma_f64 v[90:91], v[143:144], s[10:11], v[94:95]
	v_fma_f64 v[94:95], v[143:144], s[8:9], v[94:95]
	v_add_f64 v[44:45], v[135:136], v[100:101]
	v_fma_f64 v[96:97], v[145:146], s[8:9], v[121:122]
	v_fma_f64 v[100:101], v[145:146], s[10:11], v[121:122]
	v_fma_f64 v[54:55], v[125:126], s[10:11], v[98:99]
	v_fma_f64 v[58:59], v[125:126], s[8:9], v[98:99]
	v_fma_f64 v[60:61], v[104:105], s[8:9], v[108:109]
	v_fma_f64 v[62:63], v[106:107], s[10:11], v[110:111]
	v_fma_f64 v[64:65], v[104:105], s[10:11], v[108:109]
	v_fma_f64 v[66:67], v[106:107], s[8:9], v[110:111]
	v_fma_f64 v[88:89], v[141:142], s[8:9], v[112:113]
	v_fma_f64 v[92:93], v[141:142], s[10:11], v[112:113]
	v_fma_f64 v[98:99], v[116:117], s[10:11], v[114:115]
	v_add_co_u32 v104, s0, s2, v149
	v_add_co_ci_u32_e64 v105, null, s3, 0, s0
	v_and_b32_e32 v106, 0xffff, v137
	v_and_b32_e32 v108, 0xffff, v147
	v_mov_b32_e32 v137, 0xe38f
	ds_write_b128 v232, v[32:35]
	ds_write_b128 v232, v[52:55] offset:256
	ds_write_b128 v232, v[56:59] offset:512
	ds_write_b128 v233, v[36:39]
	ds_write_b128 v233, v[60:63] offset:256
	ds_write_b128 v233, v[64:67] offset:512
	;; [unrolled: 3-line block ×4, first 2 shown]
	s_waitcnt lgkmcnt(0)
	s_waitcnt_vscnt null, 0x0
	s_barrier
	buffer_gl0_inv
	s_clause 0x1
	global_load_dwordx4 v[32:35], v[104:105], off offset:528
	global_load_dwordx4 v[44:47], v[104:105], off offset:512
	v_add_co_u32 v106, s0, s2, v106
	v_add_co_ci_u32_e64 v107, null, s3, 0, s0
	v_add_co_u32 v52, s0, s2, v108
	v_add_co_ci_u32_e64 v53, null, s3, 0, s0
	v_and_b32_e32 v60, 0xffff, v148
	s_clause 0x3
	global_load_dwordx4 v[40:43], v[106:107], off offset:512
	global_load_dwordx4 v[36:39], v[106:107], off offset:528
	;; [unrolled: 1-line block ×4, first 2 shown]
	v_mul_u32_u24_sdwa v151, v226, v137 dst_sel:DWORD dst_unused:UNUSED_PAD src0_sel:WORD_0 src1_sel:DWORD
	v_add_co_u32 v60, s0, s2, v60
	v_add_co_ci_u32_e64 v61, null, s3, 0, s0
	s_clause 0x1
	global_load_dwordx4 v[64:67], v[60:61], off offset:512
	global_load_dwordx4 v[60:63], v[60:61], off offset:528
	ds_read_b128 v[88:91], v227 offset:20736
	ds_read_b128 v[92:95], v227 offset:41472
	;; [unrolled: 1-line block ×9, first 2 shown]
	v_mul_u32_u24_sdwa v159, v152, v137 dst_sel:DWORD dst_unused:UNUSED_PAD src0_sel:WORD_0 src1_sel:DWORD
	s_waitcnt vmcnt(7) lgkmcnt(7)
	v_mul_f64 v[131:132], v[92:93], v[34:35]
	s_waitcnt vmcnt(6)
	v_mul_f64 v[118:119], v[88:89], v[46:47]
	v_mul_f64 v[112:113], v[90:91], v[46:47]
	;; [unrolled: 1-line block ×3, first 2 shown]
	s_waitcnt vmcnt(5) lgkmcnt(6)
	v_mul_f64 v[133:134], v[98:99], v[42:43]
	v_mul_f64 v[135:136], v[96:97], v[42:43]
	s_waitcnt vmcnt(4) lgkmcnt(5)
	v_mul_f64 v[139:140], v[102:103], v[38:39]
	v_mul_f64 v[141:142], v[100:101], v[38:39]
	;; [unrolled: 3-line block ×6, first 2 shown]
	v_fma_f64 v[165:166], v[90:91], v[44:45], v[118:119]
	v_fma_f64 v[131:132], v[94:95], v[32:33], v[131:132]
	v_fma_f64 v[163:164], v[88:89], v[44:45], -v[112:113]
	v_fma_f64 v[129:130], v[92:93], v[32:33], -v[129:130]
	ds_read_b128 v[88:91], v227
	v_lshrrev_b32_e32 v118, 23, v151
	v_lshrrev_b32_e32 v112, 23, v159
	v_fma_f64 v[133:134], v[96:97], v[40:41], -v[133:134]
	v_fma_f64 v[135:136], v[98:99], v[40:41], v[135:136]
	v_fma_f64 v[100:101], v[100:101], v[36:37], -v[139:140]
	v_fma_f64 v[102:103], v[102:103], v[36:37], v[141:142]
	;; [unrolled: 2-line block ×4, first 2 shown]
	ds_read_b128 v[92:95], v227 offset:5184
	ds_read_b128 v[96:99], v227 offset:10368
	v_mad_u16 v159, 0x90, v83, v87
	v_mul_lo_u16 v113, 0x90, v118
	v_fma_f64 v[121:122], v[121:122], v[64:65], -v[153:154]
	v_fma_f64 v[123:124], v[123:124], v[64:65], v[155:156]
	v_fma_f64 v[125:126], v[125:126], v[60:61], -v[157:158]
	v_fma_f64 v[127:128], v[127:128], v[60:61], v[161:162]
	v_mad_u16 v158, 0x90, v82, v86
	v_add_f64 v[141:142], v[165:166], v[131:132]
	s_waitcnt lgkmcnt(2)
	v_add_f64 v[82:83], v[90:91], v[165:166]
	v_add_f64 v[139:140], v[163:164], v[129:130]
	v_mul_lo_u16 v151, 0x90, v112
	v_sub_nc_u16 v119, v226, v113
	v_mad_u16 v157, 0x90, v81, v85
	v_add_f64 v[155:156], v[163:164], -v[129:130]
	v_lshlrev_b32_sdwa v236, v138, v158 dst_sel:DWORD dst_unused:UNUSED_PAD src0_sel:DWORD src1_sel:WORD_0
	v_add_f64 v[143:144], v[133:134], v[100:101]
	v_add_f64 v[145:146], v[135:136], v[102:103]
	v_sub_nc_u16 v113, v152, v151
	v_mad_u16 v151, 0x90, v80, v84
	v_add_f64 v[147:148], v[104:105], v[108:109]
	v_add_f64 v[149:150], v[106:107], v[110:111]
	;; [unrolled: 1-line block ×3, first 2 shown]
	s_waitcnt lgkmcnt(1)
	v_add_f64 v[84:85], v[92:93], v[133:134]
	v_add_f64 v[86:87], v[94:95], v[135:136]
	v_lshlrev_b16 v161, 5, v119
	v_add_f64 v[135:136], v[135:136], -v[102:103]
	v_add_f64 v[153:154], v[121:122], v[125:126]
	v_add_f64 v[133:134], v[133:134], -v[100:101]
	v_lshlrev_b32_sdwa v239, v138, v151 dst_sel:DWORD dst_unused:UNUSED_PAD src0_sel:DWORD src1_sel:WORD_0
	v_fma_f64 v[141:142], v[141:142], -0.5, v[90:91]
	v_add_f64 v[90:91], v[123:124], v[127:128]
	v_fma_f64 v[139:140], v[139:140], -0.5, v[88:89]
	s_waitcnt lgkmcnt(0)
	v_add_f64 v[88:89], v[96:97], v[104:105]
	v_lshlrev_b32_sdwa v237, v138, v157 dst_sel:DWORD dst_unused:UNUSED_PAD src0_sel:DWORD src1_sel:WORD_0
	v_and_b32_e32 v151, 0xffff, v161
	v_add_f64 v[157:158], v[106:107], -v[110:111]
	v_add_f64 v[161:162], v[104:105], -v[108:109]
	v_fma_f64 v[143:144], v[143:144], -0.5, v[92:93]
	v_fma_f64 v[145:146], v[145:146], -0.5, v[94:95]
	v_add_f64 v[92:93], v[98:99], v[106:107]
	v_add_f64 v[94:95], v[114:115], v[121:122]
	v_fma_f64 v[147:148], v[147:148], -0.5, v[96:97]
	v_fma_f64 v[149:150], v[149:150], -0.5, v[98:99]
	v_add_f64 v[96:97], v[116:117], v[123:124]
	v_add_f64 v[98:99], v[165:166], -v[131:132]
	v_add_f64 v[163:164], v[123:124], -v[127:128]
	;; [unrolled: 1-line block ×3, first 2 shown]
	v_add_f64 v[80:81], v[80:81], v[129:130]
	v_fma_f64 v[153:154], v[153:154], -0.5, v[114:115]
	v_add_f64 v[82:83], v[82:83], v[131:132]
	v_add_f64 v[84:85], v[84:85], v[100:101]
	;; [unrolled: 1-line block ×3, first 2 shown]
	v_fma_f64 v[169:170], v[90:91], -0.5, v[116:117]
	v_fma_f64 v[102:103], v[155:156], s[8:9], v[141:142]
	v_add_f64 v[88:89], v[88:89], v[108:109]
	v_lshlrev_b16 v167, 5, v113
	v_lshlrev_b32_sdwa v238, v138, v159 dst_sel:DWORD dst_unused:UNUSED_PAD src0_sel:DWORD src1_sel:WORD_0
	s_barrier
	v_fma_f64 v[104:105], v[135:136], s[8:9], v[143:144]
	v_fma_f64 v[106:107], v[133:134], s[10:11], v[145:146]
	v_add_f64 v[90:91], v[92:93], v[110:111]
	v_add_f64 v[92:93], v[94:95], v[125:126]
	v_fma_f64 v[108:109], v[135:136], s[10:11], v[143:144]
	v_fma_f64 v[110:111], v[133:134], s[8:9], v[145:146]
	v_add_f64 v[94:95], v[96:97], v[127:128]
	v_fma_f64 v[96:97], v[98:99], s[8:9], v[139:140]
	v_fma_f64 v[100:101], v[98:99], s[10:11], v[139:140]
	;; [unrolled: 1-line block ×9, first 2 shown]
	v_add_co_u32 v133, s0, s2, v151
	v_fma_f64 v[129:130], v[163:164], s[10:11], v[153:154]
	v_fma_f64 v[131:132], v[165:166], s[8:9], v[169:170]
	v_add_co_ci_u32_e64 v134, null, s3, 0, s0
	v_add_co_u32 v133, s0, 0x800, v133
	buffer_gl0_inv
	v_add_co_ci_u32_e64 v134, s0, 0, v134, s0
	ds_write_b128 v239, v[80:83]
	ds_write_b128 v239, v[96:99] offset:768
	ds_write_b128 v239, v[100:103] offset:1536
	ds_write_b128 v237, v[84:87]
	ds_write_b128 v237, v[104:107] offset:768
	ds_write_b128 v237, v[108:111] offset:1536
	;; [unrolled: 3-line block ×4, first 2 shown]
	s_waitcnt lgkmcnt(0)
	s_barrier
	buffer_gl0_inv
	global_load_dwordx4 v[80:83], v[133:134], off
	v_and_b32_e32 v84, 0xffff, v167
	v_mul_u32_u24_sdwa v94, v160, v137 dst_sel:DWORD dst_unused:UNUSED_PAD src0_sel:WORD_0 src1_sel:DWORD
	v_mul_u32_u24_sdwa v102, v168, v137 dst_sel:DWORD dst_unused:UNUSED_PAD src0_sel:WORD_0 src1_sel:DWORD
	v_mad_u16 v118, 0x1b0, v118, v119
	v_mad_u16 v112, 0x1b0, v112, v113
	v_add_co_u32 v84, s0, s2, v84
	v_add_co_ci_u32_e64 v85, null, s3, 0, s0
	v_lshrrev_b32_e32 v114, 23, v94
	v_add_co_u32 v92, s0, 0x800, v84
	v_add_co_ci_u32_e64 v93, s0, 0, v85, s0
	s_clause 0x1
	global_load_dwordx4 v[88:91], v[133:134], off offset:16
	global_load_dwordx4 v[84:87], v[92:93], off
	v_mul_lo_u16 v94, 0x90, v114
	v_lshrrev_b32_e32 v116, 23, v102
	v_lshlrev_b32_sdwa v240, v138, v118 dst_sel:DWORD dst_unused:UNUSED_PAD src0_sel:DWORD src1_sel:WORD_0
	v_lshlrev_b32_e32 v118, 5, v226
	v_lshlrev_b32_sdwa v243, v138, v112 dst_sel:DWORD dst_unused:UNUSED_PAD src0_sel:DWORD src1_sel:WORD_0
	v_sub_nc_u16 v115, v160, v94
	global_load_dwordx4 v[92:95], v[92:93], off offset:16
	v_mul_lo_u16 v102, 0x90, v116
	v_mov_b32_e32 v159, 0x12f7
	v_lshlrev_b16 v96, 5, v115
	v_mad_u16 v114, 0x1b0, v114, v115
	v_sub_nc_u16 v117, v168, v102
	v_and_b32_e32 v96, 0xffff, v96
	v_lshlrev_b32_sdwa v242, v138, v114 dst_sel:DWORD dst_unused:UNUSED_PAD src0_sel:DWORD src1_sel:WORD_0
	v_lshlrev_b16 v104, 5, v117
	v_mad_u16 v115, 0x1b0, v116, v117
	v_add_co_u32 v96, s0, s2, v96
	v_add_co_ci_u32_e64 v97, null, s3, 0, s0
	v_and_b32_e32 v104, 0xffff, v104
	v_add_co_u32 v100, s0, 0x800, v96
	v_add_co_ci_u32_e64 v101, s0, 0, v97, s0
	v_add_co_u32 v104, s0, s2, v104
	v_add_co_ci_u32_e64 v105, null, s3, 0, s0
	s_clause 0x1
	global_load_dwordx4 v[96:99], v[100:101], off
	global_load_dwordx4 v[100:103], v[100:101], off offset:16
	v_add_co_u32 v108, s0, 0x800, v104
	v_add_co_ci_u32_e64 v109, s0, 0, v105, s0
	s_clause 0x1
	global_load_dwordx4 v[104:107], v[108:109], off
	global_load_dwordx4 v[108:111], v[108:109], off offset:16
	ds_read_b128 v[121:124], v227 offset:20736
	ds_read_b128 v[125:128], v227 offset:41472
	ds_read_b128 v[129:132], v227 offset:25920
	ds_read_b128 v[133:136], v227 offset:15552
	ds_read_b128 v[139:142], v227 offset:36288
	ds_read_b128 v[143:146], v227 offset:31104
	v_lshlrev_b32_sdwa v241, v138, v115 dst_sel:DWORD dst_unused:UNUSED_PAD src0_sel:DWORD src1_sel:WORD_0
	s_waitcnt vmcnt(7) lgkmcnt(5)
	v_mul_f64 v[147:148], v[123:124], v[82:83]
	v_mul_f64 v[149:150], v[121:122], v[82:83]
	s_waitcnt vmcnt(6) lgkmcnt(4)
	v_mul_f64 v[153:154], v[127:128], v[90:91]
	s_waitcnt vmcnt(5) lgkmcnt(3)
	v_mul_f64 v[157:158], v[131:132], v[86:87]
	v_mul_f64 v[161:162], v[129:130], v[86:87]
	;; [unrolled: 1-line block ×3, first 2 shown]
	v_fma_f64 v[147:148], v[121:122], v[80:81], -v[147:148]
	v_fma_f64 v[149:150], v[123:124], v[80:81], v[149:150]
	ds_read_b128 v[121:124], v227 offset:46656
	v_fma_f64 v[153:154], v[125:126], v[88:89], -v[153:154]
	v_fma_f64 v[157:158], v[129:130], v[84:85], -v[157:158]
	v_fma_f64 v[161:162], v[131:132], v[84:85], v[161:162]
	v_fma_f64 v[155:156], v[127:128], v[88:89], v[155:156]
	ds_read_b128 v[125:128], v227 offset:51840
	s_waitcnt vmcnt(4) lgkmcnt(1)
	v_mul_f64 v[129:130], v[123:124], v[94:95]
	v_mul_f64 v[131:132], v[121:122], v[94:95]
	v_fma_f64 v[163:164], v[121:122], v[92:93], -v[129:130]
	v_fma_f64 v[165:166], v[123:124], v[92:93], v[131:132]
	s_waitcnt vmcnt(3)
	v_mul_f64 v[121:122], v[145:146], v[98:99]
	v_mul_f64 v[123:124], v[143:144], v[98:99]
	v_add_f64 v[129:130], v[149:150], -v[155:156]
	v_fma_f64 v[169:170], v[143:144], v[96:97], -v[121:122]
	v_fma_f64 v[171:172], v[145:146], v[96:97], v[123:124]
	s_waitcnt vmcnt(2) lgkmcnt(0)
	v_mul_f64 v[121:122], v[127:128], v[102:103]
	v_mul_f64 v[123:124], v[125:126], v[102:103]
	v_fma_f64 v[173:174], v[125:126], v[100:101], -v[121:122]
	v_fma_f64 v[175:176], v[127:128], v[100:101], v[123:124]
	s_waitcnt vmcnt(1)
	v_mul_f64 v[121:122], v[141:142], v[106:107]
	v_mul_f64 v[123:124], v[139:140], v[106:107]
	v_fma_f64 v[177:178], v[139:140], v[104:105], -v[121:122]
	v_fma_f64 v[179:180], v[141:142], v[104:105], v[123:124]
	ds_read_b128 v[121:124], v227 offset:57024
	v_add_f64 v[139:140], v[147:148], -v[153:154]
	s_waitcnt vmcnt(0) lgkmcnt(0)
	v_mul_f64 v[125:126], v[123:124], v[110:111]
	v_fma_f64 v[181:182], v[121:122], v[108:109], -v[125:126]
	v_mul_f64 v[121:122], v[121:122], v[110:111]
	v_add_f64 v[125:126], v[147:148], v[153:154]
	v_fma_f64 v[183:184], v[123:124], v[108:109], v[121:122]
	ds_read_b128 v[121:124], v227
	s_waitcnt lgkmcnt(0)
	v_fma_f64 v[127:128], v[125:126], -0.5, v[121:122]
	v_add_f64 v[125:126], v[149:150], v[155:156]
	v_add_f64 v[121:122], v[121:122], v[147:148]
	;; [unrolled: 1-line block ×3, first 2 shown]
	v_fma_f64 v[131:132], v[125:126], -0.5, v[123:124]
	v_add_f64 v[123:124], v[123:124], v[149:150]
	v_fma_f64 v[125:126], v[129:130], s[8:9], v[127:128]
	v_fma_f64 v[129:130], v[129:130], s[10:11], v[127:128]
	v_add_f64 v[121:122], v[121:122], v[153:154]
	v_fma_f64 v[127:128], v[139:140], s[10:11], v[131:132]
	v_fma_f64 v[131:132], v[139:140], s[8:9], v[131:132]
	ds_read_b128 v[139:142], v227 offset:5184
	ds_read_b128 v[143:146], v227 offset:10368
	v_add_f64 v[123:124], v[123:124], v[155:156]
	s_waitcnt lgkmcnt(0)
	s_barrier
	buffer_gl0_inv
	ds_write_b128 v240, v[121:124]
	ds_write_b128 v240, v[125:128] offset:2304
	ds_write_b128 v240, v[129:132] offset:4608
	v_fma_f64 v[155:156], v[147:148], -0.5, v[139:140]
	v_add_f64 v[147:148], v[161:162], v[165:166]
	v_add_f64 v[139:140], v[139:140], v[157:158]
	v_fma_f64 v[185:186], v[147:148], -0.5, v[141:142]
	v_add_f64 v[141:142], v[141:142], v[161:162]
	v_add_f64 v[161:162], v[161:162], -v[165:166]
	v_add_f64 v[147:148], v[139:140], v[163:164]
	v_add_f64 v[139:140], v[157:158], -v[163:164]
	v_add_f64 v[149:150], v[141:142], v[165:166]
	v_add_f64 v[141:142], v[171:172], v[175:176]
	v_fma_f64 v[153:154], v[161:162], s[8:9], v[155:156]
	v_fma_f64 v[161:162], v[161:162], s[10:11], v[155:156]
	;; [unrolled: 1-line block ×4, first 2 shown]
	v_add_f64 v[139:140], v[169:170], v[173:174]
	v_add_f64 v[165:166], v[171:172], -v[175:176]
	v_fma_f64 v[157:158], v[141:142], -0.5, v[145:146]
	v_add_f64 v[141:142], v[145:146], v[171:172]
	v_add_f64 v[145:146], v[143:144], v[169:170]
	v_fma_f64 v[139:140], v[139:140], -0.5, v[143:144]
	v_add_f64 v[143:144], v[141:142], v[175:176]
	v_add_f64 v[141:142], v[145:146], v[173:174]
	v_add_f64 v[145:146], v[169:170], -v[173:174]
	v_fma_f64 v[169:170], v[165:166], s[8:9], v[139:140]
	v_fma_f64 v[173:174], v[165:166], s[10:11], v[139:140]
	v_add_f64 v[139:140], v[177:178], v[181:182]
	v_add_f64 v[165:166], v[177:178], -v[181:182]
	v_fma_f64 v[171:172], v[145:146], s[10:11], v[157:158]
	v_fma_f64 v[175:176], v[145:146], s[8:9], v[157:158]
	v_add_f64 v[145:146], v[179:180], v[183:184]
	v_add_f64 v[157:158], v[179:180], -v[183:184]
	v_fma_f64 v[139:140], v[139:140], -0.5, v[133:134]
	v_add_f64 v[133:134], v[133:134], v[177:178]
	v_fma_f64 v[145:146], v[145:146], -0.5, v[135:136]
	v_add_f64 v[135:136], v[135:136], v[179:180]
	v_fma_f64 v[177:178], v[157:158], s[8:9], v[139:140]
	v_add_f64 v[133:134], v[133:134], v[181:182]
	v_fma_f64 v[181:182], v[157:158], s[10:11], v[139:140]
	v_add_co_u32 v139, s0, s2, v118
	v_add_co_ci_u32_e64 v140, null, s3, 0, s0
	v_add_co_u32 v112, s0, 0x1800, v139
	v_add_co_ci_u32_e64 v113, s0, 0, v140, s0
	v_add_co_u32 v116, s0, 0x1a00, v139
	v_add_co_ci_u32_e64 v117, s0, 0, v140, s0
	v_add_co_u32 v121, s0, 0xffffff94, v226
	v_add_co_ci_u32_e64 v122, null, 0, -1, s0
	v_fma_f64 v[179:180], v[165:166], s[10:11], v[145:146]
	v_add_f64 v[135:136], v[135:136], v[183:184]
	v_fma_f64 v[183:184], v[165:166], s[8:9], v[145:146]
	ds_write_b128 v243, v[147:150]
	ds_write_b128 v243, v[153:156] offset:2304
	ds_write_b128 v243, v[161:164] offset:4608
	ds_write_b128 v242, v[141:144]
	ds_write_b128 v242, v[169:172] offset:2304
	ds_write_b128 v242, v[173:176] offset:4608
	;; [unrolled: 3-line block ×3, first 2 shown]
	s_waitcnt lgkmcnt(0)
	s_barrier
	buffer_gl0_inv
	s_clause 0x1
	global_load_dwordx4 v[112:115], v[112:113], off offset:512
	global_load_dwordx4 v[116:119], v[116:117], off offset:16
	v_cmp_gt_u16_e64 s0, 0x6c, v226
	v_cndmask_b32_e64 v137, v122, v120, s0
	v_cndmask_b32_e64 v136, v121, v152, s0
	v_lshlrev_b32_e32 v152, 5, v152
	v_lshlrev_b64 v[120:121], 5, v[136:137]
	v_add_co_u32 v124, s0, s2, v120
	v_add_co_ci_u32_e64 v125, s0, s3, v121, s0
	v_add_co_u32 v120, s0, 0x1800, v124
	v_add_co_ci_u32_e64 v121, s0, 0, v125, s0
	;; [unrolled: 2-line block ×3, first 2 shown]
	s_clause 0x1
	global_load_dwordx4 v[120:123], v[120:121], off offset:512
	global_load_dwordx4 v[124:127], v[124:125], off offset:16
	ds_read_b128 v[128:131], v227 offset:20736
	ds_read_b128 v[153:156], v227 offset:15552
	;; [unrolled: 1-line block ×4, first 2 shown]
	s_waitcnt vmcnt(3) lgkmcnt(3)
	v_mul_f64 v[141:142], v[130:131], v[114:115]
	v_mul_f64 v[143:144], v[128:129], v[114:115]
	s_waitcnt vmcnt(2) lgkmcnt(1)
	v_mul_f64 v[145:146], v[134:135], v[118:119]
	v_fma_f64 v[157:158], v[128:129], v[112:113], -v[141:142]
	v_mul_f64 v[128:129], v[132:133], v[118:119]
	v_fma_f64 v[165:166], v[130:131], v[112:113], v[143:144]
	v_fma_f64 v[169:170], v[132:133], v[116:117], -v[145:146]
	v_fma_f64 v[171:172], v[134:135], v[116:117], v[128:129]
	ds_read_b128 v[128:131], v227 offset:25920
	ds_read_b128 v[142:145], v227 offset:31104
	s_waitcnt vmcnt(1) lgkmcnt(1)
	v_mul_f64 v[132:133], v[130:131], v[122:123]
	v_add_f64 v[175:176], v[165:166], v[171:172]
	v_fma_f64 v[185:186], v[128:129], v[120:121], -v[132:133]
	v_mul_f64 v[128:129], v[128:129], v[122:123]
	v_fma_f64 v[187:188], v[130:131], v[120:121], v[128:129]
	ds_read_b128 v[128:131], v227 offset:46656
	ds_read_b128 v[146:149], v227 offset:51840
	s_waitcnt vmcnt(0) lgkmcnt(1)
	v_mul_f64 v[132:133], v[130:131], v[126:127]
	v_fma_f64 v[189:190], v[128:129], v[124:125], -v[132:133]
	v_mul_f64 v[128:129], v[128:129], v[126:127]
	v_fma_f64 v[191:192], v[130:131], v[124:125], v[128:129]
	v_lshrrev_b16 v128, 4, v160
	v_mul_u32_u24_sdwa v128, v128, v159 dst_sel:DWORD dst_unused:UNUSED_PAD src0_sel:WORD_0 src1_sel:DWORD
	v_lshrrev_b32_e32 v137, 17, v128
	v_mul_lo_u16 v128, 0x1b0, v137
	v_sub_nc_u16 v141, v160, v128
	v_lshlrev_b32_e32 v160, 5, v160
	v_lshlrev_b16 v128, 5, v141
	v_and_b32_e32 v128, 0xffff, v128
	v_add_co_u32 v130, s0, s2, v128
	v_add_co_ci_u32_e64 v131, null, s3, 0, s0
	v_add_co_u32 v128, s0, 0x1800, v130
	v_add_co_ci_u32_e64 v129, s0, 0, v131, s0
	v_add_co_u32 v132, s0, 0x1a00, v130
	v_add_co_ci_u32_e64 v133, s0, 0, v131, s0
	s_clause 0x1
	global_load_dwordx4 v[128:131], v[128:129], off offset:512
	global_load_dwordx4 v[132:135], v[132:133], off offset:16
	s_waitcnt vmcnt(1)
	v_mul_f64 v[150:151], v[144:145], v[130:131]
	v_fma_f64 v[193:194], v[142:143], v[128:129], -v[150:151]
	v_mul_f64 v[142:143], v[142:143], v[130:131]
	v_fma_f64 v[142:143], v[144:145], v[128:129], v[142:143]
	s_waitcnt vmcnt(0) lgkmcnt(0)
	v_mul_f64 v[144:145], v[148:149], v[134:135]
	v_fma_f64 v[195:196], v[146:147], v[132:133], -v[144:145]
	v_mul_f64 v[144:145], v[146:147], v[134:135]
	v_add_f64 v[199:200], v[193:194], -v[195:196]
	v_fma_f64 v[197:198], v[148:149], v[132:133], v[144:145]
	v_lshrrev_b16 v144, 4, v168
	v_mul_u32_u24_sdwa v144, v144, v159 dst_sel:DWORD dst_unused:UNUSED_PAD src0_sel:WORD_0 src1_sel:DWORD
	v_lshrrev_b32_e32 v144, 17, v144
	v_mul_lo_u16 v144, 0x1b0, v144
	v_sub_nc_u16 v159, v168, v144
	v_lshlrev_b32_e32 v168, 5, v168
	v_lshlrev_b16 v144, 5, v159
	v_lshlrev_b32_sdwa v255, v138, v159 dst_sel:DWORD dst_unused:UNUSED_PAD src0_sel:DWORD src1_sel:WORD_0
	v_and_b32_e32 v144, 0xffff, v144
	v_add_co_u32 v146, s0, s2, v144
	v_add_co_ci_u32_e64 v147, null, s3, 0, s0
	v_add_co_u32 v144, s0, 0x1800, v146
	v_add_co_ci_u32_e64 v145, s0, 0, v147, s0
	v_add_co_u32 v148, s0, 0x1a00, v146
	v_add_co_ci_u32_e64 v149, s0, 0, v147, s0
	s_clause 0x1
	global_load_dwordx4 v[144:147], v[144:145], off offset:512
	global_load_dwordx4 v[148:151], v[148:149], off offset:16
	v_cmp_lt_u16_e64 s0, 0x6b, v226
	s_waitcnt vmcnt(1)
	v_mul_f64 v[173:174], v[163:164], v[146:147]
	v_fma_f64 v[201:202], v[161:162], v[144:145], -v[173:174]
	v_mul_f64 v[161:162], v[161:162], v[146:147]
	v_fma_f64 v[203:204], v[163:164], v[144:145], v[161:162]
	ds_read_b128 v[161:164], v227 offset:57024
	s_waitcnt vmcnt(0) lgkmcnt(0)
	v_mul_f64 v[173:174], v[163:164], v[150:151]
	v_fma_f64 v[205:206], v[161:162], v[148:149], -v[173:174]
	v_mul_f64 v[161:162], v[161:162], v[150:151]
	v_add_f64 v[173:174], v[157:158], v[169:170]
	v_fma_f64 v[207:208], v[163:164], v[148:149], v[161:162]
	ds_read_b128 v[161:164], v227
	ds_read_b128 v[177:180], v227 offset:5184
	ds_read_b128 v[181:184], v227 offset:10368
	s_waitcnt lgkmcnt(0)
	s_barrier
	buffer_gl0_inv
	v_fma_f64 v[173:174], v[173:174], -0.5, v[161:162]
	v_fma_f64 v[175:176], v[175:176], -0.5, v[163:164]
	v_add_f64 v[163:164], v[163:164], v[165:166]
	v_add_f64 v[161:162], v[161:162], v[157:158]
	v_add_f64 v[165:166], v[165:166], -v[171:172]
	v_add_f64 v[157:158], v[157:158], -v[169:170]
	v_add_f64 v[163:164], v[163:164], v[171:172]
	v_add_f64 v[161:162], v[161:162], v[169:170]
	v_fma_f64 v[169:170], v[165:166], s[8:9], v[173:174]
	v_fma_f64 v[173:174], v[165:166], s[10:11], v[173:174]
	v_add_f64 v[165:166], v[187:188], v[191:192]
	v_fma_f64 v[171:172], v[157:158], s[10:11], v[175:176]
	v_fma_f64 v[175:176], v[157:158], s[8:9], v[175:176]
	v_add_f64 v[157:158], v[185:186], v[189:190]
	ds_write_b128 v227, v[161:164]
	ds_write_b128 v227, v[169:172] offset:6912
	ds_write_b128 v227, v[173:176] offset:13824
	v_fma_f64 v[165:166], v[165:166], -0.5, v[179:180]
	v_add_f64 v[179:180], v[179:180], v[187:188]
	v_fma_f64 v[157:158], v[157:158], -0.5, v[177:178]
	v_add_f64 v[177:178], v[177:178], v[185:186]
	v_add_f64 v[187:188], v[187:188], -v[191:192]
	v_add_f64 v[179:180], v[179:180], v[191:192]
	v_add_f64 v[191:192], v[185:186], -v[189:190]
	v_add_f64 v[177:178], v[177:178], v[189:190]
	v_fma_f64 v[185:186], v[187:188], s[8:9], v[157:158]
	v_fma_f64 v[189:190], v[187:188], s[10:11], v[157:158]
	v_add_f64 v[157:158], v[193:194], v[195:196]
	v_fma_f64 v[187:188], v[191:192], s[10:11], v[165:166]
	v_fma_f64 v[191:192], v[191:192], s[8:9], v[165:166]
	v_add_f64 v[165:166], v[142:143], v[197:198]
	v_fma_f64 v[157:158], v[157:158], -0.5, v[181:182]
	v_add_f64 v[181:182], v[181:182], v[193:194]
	v_fma_f64 v[165:166], v[165:166], -0.5, v[183:184]
	v_add_f64 v[183:184], v[183:184], v[142:143]
	v_add_f64 v[142:143], v[142:143], -v[197:198]
	v_add_f64 v[181:182], v[181:182], v[195:196]
	v_fma_f64 v[195:196], v[199:200], s[10:11], v[165:166]
	v_add_f64 v[183:184], v[183:184], v[197:198]
	v_fma_f64 v[193:194], v[142:143], s[8:9], v[157:158]
	v_fma_f64 v[197:198], v[142:143], s[10:11], v[157:158]
	v_add_f64 v[157:158], v[203:204], v[207:208]
	v_add_f64 v[142:143], v[201:202], v[205:206]
	v_fma_f64 v[199:200], v[199:200], s[8:9], v[165:166]
	v_add_f64 v[165:166], v[203:204], -v[207:208]
	v_fma_f64 v[157:158], v[157:158], -0.5, v[155:156]
	v_add_f64 v[155:156], v[155:156], v[203:204]
	v_fma_f64 v[142:143], v[142:143], -0.5, v[153:154]
	v_add_f64 v[153:154], v[153:154], v[201:202]
	v_add_f64 v[155:156], v[155:156], v[207:208]
	v_add_f64 v[207:208], v[201:202], -v[205:206]
	v_add_f64 v[153:154], v[153:154], v[205:206]
	v_fma_f64 v[205:206], v[165:166], s[10:11], v[142:143]
	v_fma_f64 v[201:202], v[165:166], s[8:9], v[142:143]
	v_cndmask_b32_e64 v142, 0, 0x510, s0
	v_add_lshl_u32 v0, v136, v142, 4
	v_mad_u16 v136, 0x510, v137, v141
	v_add_co_u32 v141, s0, 0x5000, v139
	ds_write_b128 v0, v[177:180]
	ds_write_b128 v0, v[185:188] offset:6912
	buffer_store_dword v0, off, s[24:27], 0 offset:20 ; 4-byte Folded Spill
	ds_write_b128 v0, v[189:192] offset:13824
	v_lshlrev_b32_sdwa v0, v138, v136 dst_sel:DWORD dst_unused:UNUSED_PAD src0_sel:DWORD src1_sel:WORD_0
	v_add_co_ci_u32_e64 v142, s0, 0, v140, s0
	ds_write_b128 v0, v[181:184]
	ds_write_b128 v0, v[193:196] offset:6912
	v_fma_f64 v[203:204], v[207:208], s[10:11], v[157:158]
	v_fma_f64 v[207:208], v[207:208], s[8:9], v[157:158]
	buffer_store_dword v0, off, s[24:27], 0 offset:16 ; 4-byte Folded Spill
	ds_write_b128 v0, v[197:200] offset:13824
	ds_write_b128 v255, v[153:156] offset:41472
	;; [unrolled: 1-line block ×3, first 2 shown]
	v_add_co_u32 v152, s0, s2, v152
	ds_write_b128 v255, v[205:208] offset:55296
	s_waitcnt lgkmcnt(0)
	s_waitcnt_vscnt null, 0x0
	s_barrier
	buffer_gl0_inv
	s_clause 0x1
	global_load_dwordx4 v[136:139], v[141:142], off
	global_load_dwordx4 v[140:143], v[141:142], off offset:16
	ds_read_b128 v[153:156], v227 offset:20736
	ds_read_b128 v[212:215], v227 offset:15552
	s_waitcnt vmcnt(1) lgkmcnt(1)
	v_mul_f64 v[157:158], v[155:156], v[138:139]
	v_fma_f64 v[184:185], v[153:154], v[136:137], -v[157:158]
	v_mul_f64 v[153:154], v[153:154], v[138:139]
	v_fma_f64 v[186:187], v[155:156], v[136:137], v[153:154]
	ds_read_b128 v[153:156], v227 offset:41472
	ds_read_b128 v[176:179], v227 offset:36288
	s_waitcnt vmcnt(0) lgkmcnt(1)
	v_mul_f64 v[157:158], v[155:156], v[142:143]
	v_fma_f64 v[188:189], v[153:154], v[140:141], -v[157:158]
	v_mul_f64 v[153:154], v[153:154], v[142:143]
	v_fma_f64 v[190:191], v[155:156], v[140:141], v[153:154]
	v_add_co_ci_u32_e64 v153, null, s3, 0, s0
	v_add_co_u32 v156, s0, 0x5000, v152
	v_add_co_ci_u32_e64 v157, s0, 0, v153, s0
	s_clause 0x1
	global_load_dwordx4 v[152:155], v[156:157], off
	global_load_dwordx4 v[156:159], v[156:157], off offset:16
	ds_read_b128 v[161:164], v227 offset:25920
	ds_read_b128 v[169:172], v227 offset:31104
	v_add_co_u32 v160, s0, s2, v160
	s_waitcnt vmcnt(1) lgkmcnt(1)
	v_mul_f64 v[165:166], v[163:164], v[154:155]
	v_fma_f64 v[192:193], v[161:162], v[152:153], -v[165:166]
	v_mul_f64 v[161:162], v[161:162], v[154:155]
	v_fma_f64 v[194:195], v[163:164], v[152:153], v[161:162]
	ds_read_b128 v[161:164], v227 offset:46656
	ds_read_b128 v[180:183], v227 offset:51840
	s_waitcnt vmcnt(0) lgkmcnt(1)
	v_mul_f64 v[165:166], v[163:164], v[158:159]
	v_fma_f64 v[204:205], v[161:162], v[156:157], -v[165:166]
	v_mul_f64 v[161:162], v[161:162], v[158:159]
	v_fma_f64 v[206:207], v[163:164], v[156:157], v[161:162]
	v_add_co_ci_u32_e64 v161, null, s3, 0, s0
	v_add_co_u32 v164, s0, 0x5000, v160
	v_add_co_ci_u32_e64 v165, s0, 0, v161, s0
	s_clause 0x1
	global_load_dwordx4 v[160:163], v[164:165], off
	global_load_dwordx4 v[164:167], v[164:165], off offset:16
	v_add_co_u32 v168, s0, s2, v168
	s_waitcnt vmcnt(1)
	v_mul_f64 v[173:174], v[171:172], v[162:163]
	v_fma_f64 v[208:209], v[169:170], v[160:161], -v[173:174]
	v_mul_f64 v[169:170], v[169:170], v[162:163]
	v_fma_f64 v[210:211], v[171:172], v[160:161], v[169:170]
	s_waitcnt vmcnt(0) lgkmcnt(0)
	v_mul_f64 v[169:170], v[182:183], v[166:167]
	v_fma_f64 v[216:217], v[180:181], v[164:165], -v[169:170]
	v_mul_f64 v[169:170], v[180:181], v[166:167]
	v_fma_f64 v[218:219], v[182:183], v[164:165], v[169:170]
	v_add_co_ci_u32_e64 v169, null, s3, 0, s0
	v_add_co_u32 v172, s0, 0x5000, v168
	v_add_f64 v[182:183], v[186:187], v[190:191]
	v_add_co_ci_u32_e64 v173, s0, 0, v169, s0
	s_clause 0x1
	global_load_dwordx4 v[168:171], v[172:173], off
	global_load_dwordx4 v[172:175], v[172:173], off offset:16
	s_waitcnt vmcnt(1)
	v_mul_f64 v[180:181], v[178:179], v[170:171]
	v_fma_f64 v[220:221], v[176:177], v[168:169], -v[180:181]
	v_mul_f64 v[176:177], v[176:177], v[170:171]
	v_fma_f64 v[222:223], v[178:179], v[168:169], v[176:177]
	ds_read_b128 v[176:179], v227 offset:57024
	s_waitcnt vmcnt(0) lgkmcnt(0)
	v_mul_f64 v[180:181], v[178:179], v[174:175]
	v_fma_f64 v[228:229], v[176:177], v[172:173], -v[180:181]
	v_mul_f64 v[176:177], v[176:177], v[174:175]
	v_add_f64 v[180:181], v[184:185], v[188:189]
	v_fma_f64 v[230:231], v[178:179], v[172:173], v[176:177]
	ds_read_b128 v[176:179], v227
	s_waitcnt lgkmcnt(0)
	v_fma_f64 v[180:181], v[180:181], -0.5, v[176:177]
	v_add_f64 v[176:177], v[176:177], v[184:185]
	v_fma_f64 v[182:183], v[182:183], -0.5, v[178:179]
	v_add_f64 v[178:179], v[178:179], v[186:187]
	v_add_f64 v[186:187], v[186:187], -v[190:191]
	v_add_f64 v[184:185], v[184:185], -v[188:189]
	v_add_f64 v[196:197], v[176:177], v[188:189]
	v_add_f64 v[188:189], v[192:193], v[204:205]
	;; [unrolled: 1-line block ×3, first 2 shown]
	v_fma_f64 v[176:177], v[186:187], s[8:9], v[180:181]
	v_fma_f64 v[180:181], v[186:187], s[10:11], v[180:181]
	;; [unrolled: 1-line block ×4, first 2 shown]
	ds_read_b128 v[184:187], v227 offset:5184
	ds_read_b128 v[200:203], v227 offset:10368
	s_waitcnt lgkmcnt(1)
	v_fma_f64 v[190:191], v[188:189], -0.5, v[184:185]
	v_add_f64 v[188:189], v[194:195], v[206:207]
	v_add_f64 v[184:185], v[184:185], v[192:193]
	v_fma_f64 v[244:245], v[188:189], -0.5, v[186:187]
	v_add_f64 v[186:187], v[186:187], v[194:195]
	v_add_f64 v[194:195], v[194:195], -v[206:207]
	v_add_f64 v[184:185], v[184:185], v[204:205]
	v_add_f64 v[204:205], v[192:193], -v[204:205]
	v_add_f64 v[186:187], v[186:187], v[206:207]
	v_fma_f64 v[188:189], v[194:195], s[8:9], v[190:191]
	v_fma_f64 v[192:193], v[194:195], s[10:11], v[190:191]
	;; [unrolled: 1-line block ×4, first 2 shown]
	v_add_f64 v[204:205], v[208:209], v[216:217]
	s_waitcnt lgkmcnt(0)
	v_fma_f64 v[206:207], v[204:205], -0.5, v[200:201]
	v_add_f64 v[204:205], v[210:211], v[218:219]
	v_add_f64 v[200:201], v[200:201], v[208:209]
	v_fma_f64 v[244:245], v[204:205], -0.5, v[202:203]
	v_add_f64 v[202:203], v[202:203], v[210:211]
	v_add_f64 v[210:211], v[210:211], -v[218:219]
	v_add_f64 v[200:201], v[200:201], v[216:217]
	v_add_f64 v[216:217], v[208:209], -v[216:217]
	v_add_f64 v[202:203], v[202:203], v[218:219]
	v_fma_f64 v[204:205], v[210:211], s[8:9], v[206:207]
	v_fma_f64 v[208:209], v[210:211], s[10:11], v[206:207]
	;; [unrolled: 1-line block ×4, first 2 shown]
	v_add_f64 v[216:217], v[220:221], v[228:229]
	v_add_f64 v[218:219], v[222:223], v[230:231]
	v_fma_f64 v[216:217], v[216:217], -0.5, v[212:213]
	v_add_f64 v[212:213], v[212:213], v[220:221]
	v_fma_f64 v[218:219], v[218:219], -0.5, v[214:215]
	v_add_f64 v[214:215], v[214:215], v[222:223]
	v_add_f64 v[222:223], v[222:223], -v[230:231]
	v_add_f64 v[212:213], v[212:213], v[228:229]
	v_add_f64 v[228:229], v[220:221], -v[228:229]
	v_add_f64 v[214:215], v[214:215], v[230:231]
	v_fma_f64 v[220:221], v[222:223], s[8:9], v[216:217]
	v_fma_f64 v[216:217], v[222:223], s[10:11], v[216:217]
	;; [unrolled: 1-line block ×4, first 2 shown]
	ds_write_b128 v227, v[196:199]
	ds_write_b128 v227, v[184:187] offset:5184
	ds_write_b128 v227, v[200:203] offset:10368
	;; [unrolled: 1-line block ×11, first 2 shown]
	s_waitcnt lgkmcnt(0)
	s_barrier
	buffer_gl0_inv
	s_and_saveexec_b32 s1, vcc_lo
	s_cbranch_execz .LBB0_9
; %bb.8:
	v_add_co_u32 v245, s0, s14, v225
	v_add_co_ci_u32_e64 v244, null, s15, 0, s0
	ds_read_b128 v[246:249], v227
	v_add_co_u32 v228, s0, 0xf000, v245
	v_add_co_ci_u32_e64 v229, s0, 0, v244, s0
	global_load_dwordx4 v[250:253], v[228:229], off offset:768
	s_waitcnt vmcnt(0) lgkmcnt(0)
	v_mul_f64 v[228:229], v[248:249], v[252:253]
	v_mul_f64 v[230:231], v[246:247], v[252:253]
	v_fma_f64 v[228:229], v[246:247], v[250:251], -v[228:229]
	v_add_co_u32 v246, s0, 0x10000, v245
	v_add_co_ci_u32_e64 v247, s0, 0, v244, s0
	v_fma_f64 v[230:231], v[248:249], v[250:251], v[230:231]
	global_load_dwordx4 v[246:249], v[246:247], off offset:560
	ds_write_b128 v227, v[228:231]
	ds_read_b128 v[228:231], v225 offset:3888
	s_waitcnt vmcnt(0) lgkmcnt(0)
	v_mul_f64 v[250:251], v[230:231], v[248:249]
	v_fma_f64 v[250:251], v[228:229], v[246:247], -v[250:251]
	v_mul_f64 v[228:229], v[228:229], v[248:249]
	v_fma_f64 v[252:253], v[230:231], v[246:247], v[228:229]
	v_add_co_u32 v246, s0, 0x11000, v245
	v_add_co_ci_u32_e64 v247, s0, 0, v244, s0
	ds_read_b128 v[228:231], v225 offset:7776
	global_load_dwordx4 v[246:249], v[246:247], off offset:352
	ds_write_b128 v225, v[250:253] offset:3888
	s_waitcnt vmcnt(0) lgkmcnt(1)
	v_mul_f64 v[250:251], v[230:231], v[248:249]
	v_fma_f64 v[250:251], v[228:229], v[246:247], -v[250:251]
	v_mul_f64 v[228:229], v[228:229], v[248:249]
	v_fma_f64 v[252:253], v[230:231], v[246:247], v[228:229]
	v_add_co_u32 v246, s0, 0x12000, v245
	v_add_co_ci_u32_e64 v247, s0, 0, v244, s0
	ds_read_b128 v[228:231], v225 offset:11664
	global_load_dwordx4 v[246:249], v[246:247], off offset:144
	ds_write_b128 v225, v[250:253] offset:7776
	s_waitcnt vmcnt(0) lgkmcnt(1)
	v_mul_f64 v[250:251], v[230:231], v[248:249]
	v_fma_f64 v[250:251], v[228:229], v[246:247], -v[250:251]
	v_mul_f64 v[228:229], v[228:229], v[248:249]
	v_fma_f64 v[252:253], v[230:231], v[246:247], v[228:229]
	v_add_co_u32 v246, s0, 0x12800, v245
	v_add_co_ci_u32_e64 v247, s0, 0, v244, s0
	global_load_dwordx4 v[246:249], v[246:247], off offset:1984
	ds_write_b128 v225, v[250:253] offset:11664
	ds_read_b128 v[228:231], v227 offset:15552
	s_waitcnt vmcnt(0) lgkmcnt(0)
	v_mul_f64 v[250:251], v[230:231], v[248:249]
	v_fma_f64 v[250:251], v[228:229], v[246:247], -v[250:251]
	v_mul_f64 v[228:229], v[228:229], v[248:249]
	v_fma_f64 v[252:253], v[230:231], v[246:247], v[228:229]
	v_add_co_u32 v246, s0, 0x13800, v245
	v_add_co_ci_u32_e64 v247, s0, 0, v244, s0
	global_load_dwordx4 v[246:249], v[246:247], off offset:1776
	ds_write_b128 v227, v[250:253] offset:15552
	ds_read_b128 v[228:231], v225 offset:19440
	s_waitcnt vmcnt(0) lgkmcnt(0)
	v_mul_f64 v[250:251], v[230:231], v[248:249]
	v_fma_f64 v[250:251], v[228:229], v[246:247], -v[250:251]
	v_mul_f64 v[228:229], v[228:229], v[248:249]
	v_fma_f64 v[252:253], v[230:231], v[246:247], v[228:229]
	v_add_co_u32 v246, s0, 0x14800, v245
	v_add_co_ci_u32_e64 v247, s0, 0, v244, s0
	ds_read_b128 v[228:231], v225 offset:23328
	global_load_dwordx4 v[246:249], v[246:247], off offset:1568
	ds_write_b128 v225, v[250:253] offset:19440
	s_waitcnt vmcnt(0) lgkmcnt(1)
	v_mul_f64 v[250:251], v[230:231], v[248:249]
	v_fma_f64 v[250:251], v[228:229], v[246:247], -v[250:251]
	v_mul_f64 v[228:229], v[228:229], v[248:249]
	v_fma_f64 v[252:253], v[230:231], v[246:247], v[228:229]
	v_add_co_u32 v246, s0, 0x15800, v245
	v_add_co_ci_u32_e64 v247, s0, 0, v244, s0
	ds_read_b128 v[228:231], v225 offset:27216
	global_load_dwordx4 v[246:249], v[246:247], off offset:1360
	ds_write_b128 v225, v[250:253] offset:23328
	s_waitcnt vmcnt(0) lgkmcnt(1)
	v_mul_f64 v[250:251], v[230:231], v[248:249]
	v_fma_f64 v[250:251], v[228:229], v[246:247], -v[250:251]
	v_mul_f64 v[228:229], v[228:229], v[248:249]
	v_fma_f64 v[252:253], v[230:231], v[246:247], v[228:229]
	v_add_co_u32 v246, s0, 0x16800, v245
	v_add_co_ci_u32_e64 v247, s0, 0, v244, s0
	global_load_dwordx4 v[246:249], v[246:247], off offset:1152
	ds_write_b128 v225, v[250:253] offset:27216
	ds_read_b128 v[228:231], v227 offset:31104
	s_waitcnt vmcnt(0) lgkmcnt(0)
	v_mul_f64 v[250:251], v[230:231], v[248:249]
	v_fma_f64 v[250:251], v[228:229], v[246:247], -v[250:251]
	v_mul_f64 v[228:229], v[228:229], v[248:249]
	v_fma_f64 v[252:253], v[230:231], v[246:247], v[228:229]
	v_add_co_u32 v246, s0, 0x17800, v245
	v_add_co_ci_u32_e64 v247, s0, 0, v244, s0
	global_load_dwordx4 v[246:249], v[246:247], off offset:944
	ds_write_b128 v227, v[250:253] offset:31104
	;; [unrolled: 40-line block ×3, first 2 shown]
	ds_read_b128 v[228:231], v225 offset:50544
	s_waitcnt vmcnt(0) lgkmcnt(0)
	v_mul_f64 v[250:251], v[230:231], v[248:249]
	v_fma_f64 v[250:251], v[228:229], v[246:247], -v[250:251]
	v_mul_f64 v[228:229], v[228:229], v[248:249]
	v_fma_f64 v[252:253], v[230:231], v[246:247], v[228:229]
	v_add_co_u32 v246, s0, 0x1c000, v245
	v_add_co_ci_u32_e64 v247, s0, 0, v244, s0
	ds_read_b128 v[228:231], v225 offset:54432
	v_add_co_u32 v245, s0, 0x1d000, v245
	global_load_dwordx4 v[246:249], v[246:247], off offset:1952
	ds_write_b128 v225, v[250:253] offset:50544
	s_waitcnt vmcnt(0) lgkmcnt(1)
	v_mul_f64 v[250:251], v[230:231], v[248:249]
	v_fma_f64 v[250:251], v[228:229], v[246:247], -v[250:251]
	v_mul_f64 v[228:229], v[228:229], v[248:249]
	v_fma_f64 v[252:253], v[230:231], v[246:247], v[228:229]
	v_add_co_ci_u32_e64 v246, s0, 0, v244, s0
	ds_read_b128 v[228:231], v225 offset:58320
	global_load_dwordx4 v[244:247], v[245:246], off offset:1744
	ds_write_b128 v225, v[250:253] offset:54432
	s_waitcnt vmcnt(0) lgkmcnt(1)
	v_mul_f64 v[248:249], v[230:231], v[246:247]
	v_fma_f64 v[248:249], v[228:229], v[244:245], -v[248:249]
	v_mul_f64 v[228:229], v[228:229], v[246:247]
	v_fma_f64 v[250:251], v[230:231], v[244:245], v[228:229]
	ds_write_b128 v225, v[248:251] offset:58320
.LBB0_9:
	s_or_b32 exec_lo, exec_lo, s1
	s_waitcnt lgkmcnt(0)
	s_barrier
	buffer_gl0_inv
	s_and_saveexec_b32 s0, vcc_lo
	s_cbranch_execz .LBB0_11
; %bb.10:
	ds_read_b128 v[176:179], v227 offset:3888
	ds_read_b128 v[180:183], v227 offset:7776
	;; [unrolled: 1-line block ×14, first 2 shown]
	ds_read_b128 v[196:199], v227
	ds_read_b128 v[76:79], v227 offset:58320
.LBB0_11:
	s_or_b32 exec_lo, exec_lo, s0
	s_waitcnt lgkmcnt(0)
	s_barrier
	buffer_gl0_inv
	s_and_saveexec_b32 s18, vcc_lo
	s_cbranch_execz .LBB0_13
; %bb.12:
	v_add_f64 v[222:223], v[182:183], -v[222:223]
	v_add_f64 v[72:73], v[200:201], -v[72:73]
	;; [unrolled: 1-line block ×16, first 2 shown]
	s_mov_b32 s0, 0x667f3bcd
	s_mov_b32 s1, 0x3fe6a09e
	;; [unrolled: 1-line block ×6, first 2 shown]
	v_fma_f64 v[182:183], v[182:183], 2.0, -v[222:223]
	v_add_f64 v[228:229], v[222:223], -v[72:73]
	v_fma_f64 v[72:73], v[200:201], 2.0, -v[72:73]
	v_fma_f64 v[200:201], v[202:203], 2.0, -v[74:75]
	v_add_f64 v[230:231], v[218:219], -v[76:77]
	v_fma_f64 v[76:77], v[204:205], 2.0, -v[76:77]
	;; [unrolled: 3-line block ×3, first 2 shown]
	v_add_f64 v[206:207], v[210:211], -v[48:49]
	v_add_f64 v[74:75], v[74:75], v[220:221]
	v_add_f64 v[78:79], v[78:79], v[216:217]
	v_fma_f64 v[192:193], v[194:195], 2.0, -v[70:71]
	v_add_f64 v[70:71], v[70:71], v[212:213]
	v_fma_f64 v[194:195], v[198:199], 2.0, -v[210:211]
	v_fma_f64 v[48:49], v[188:189], 2.0, -v[48:49]
	;; [unrolled: 1-line block ×4, first 2 shown]
	v_add_f64 v[244:245], v[208:209], v[50:51]
	v_fma_f64 v[180:181], v[180:181], 2.0, -v[220:221]
	v_fma_f64 v[184:185], v[184:185], 2.0, -v[216:217]
	;; [unrolled: 1-line block ×5, first 2 shown]
	s_mov_b32 s10, 0xa6aea964
	v_add_f64 v[200:201], v[182:183], -v[200:201]
	v_fma_f64 v[218:219], v[218:219], 2.0, -v[230:231]
	s_mov_b32 s11, 0xbfd87de2
	s_mov_b32 s17, 0x3fd87de2
	v_fma_f64 v[196:197], v[230:231], s[0:1], v[202:203]
	v_fma_f64 v[214:215], v[214:215], 2.0, -v[202:203]
	v_fma_f64 v[198:199], v[228:229], s[0:1], v[206:207]
	v_fma_f64 v[210:211], v[210:211], 2.0, -v[206:207]
	v_fma_f64 v[50:51], v[220:221], 2.0, -v[74:75]
	;; [unrolled: 1-line block ×4, first 2 shown]
	s_mov_b32 s16, s10
	v_mov_b32_e32 v0, v226
	v_add_f64 v[188:189], v[194:195], -v[188:189]
	v_mov_b32_e32 v226, v242
	v_fma_f64 v[208:209], v[208:209], 2.0, -v[244:245]
	v_add_f64 v[72:73], v[180:181], -v[72:73]
	v_add_f64 v[76:77], v[184:185], -v[76:77]
	;; [unrolled: 1-line block ×5, first 2 shown]
	v_mov_b32_e32 v242, v240
	v_fma_f64 v[182:183], v[182:183], 2.0, -v[200:201]
	v_mov_b32_e32 v240, v238
	v_mov_b32_e32 v238, v236
	;; [unrolled: 1-line block ×3, first 2 shown]
	v_fma_f64 v[196:197], v[78:79], s[2:3], v[196:197]
	v_fma_f64 v[78:79], v[78:79], s[0:1], v[70:71]
	;; [unrolled: 1-line block ×4, first 2 shown]
	v_fma_f64 v[198:199], v[222:223], 2.0, -v[228:229]
	v_fma_f64 v[222:223], v[218:219], s[2:3], v[214:215]
	v_mov_b32_e32 v234, v232
	v_mov_b32_e32 v1, v243
	v_mov_b32_e32 v243, v233
	v_fma_f64 v[194:195], v[194:195], 2.0, -v[188:189]
	v_mov_b32_e32 v2, v255
	v_mov_b32_e32 v255, v224
	v_fma_f64 v[180:181], v[180:181], 2.0, -v[72:73]
	v_add_f64 v[246:247], v[188:189], -v[72:73]
	v_fma_f64 v[184:185], v[184:185], 2.0, -v[76:77]
	v_add_f64 v[72:73], v[192:193], -v[76:77]
	v_fma_f64 v[76:77], v[186:187], 2.0, -v[204:205]
	v_fma_f64 v[176:177], v[176:177], 2.0, -v[68:69]
	;; [unrolled: 1-line block ×3, first 2 shown]
	v_mov_b32_e32 v224, 4
	v_fma_f64 v[78:79], v[230:231], s[0:1], v[78:79]
	v_add_f64 v[230:231], v[190:191], -v[48:49]
	v_fma_f64 v[228:229], v[228:229], s[0:1], v[74:75]
	v_fma_f64 v[74:75], v[198:199], s[2:3], v[210:211]
	;; [unrolled: 1-line block ×4, first 2 shown]
	v_fma_f64 v[250:251], v[206:207], 2.0, -v[220:221]
	v_lshlrev_b32_sdwa v224, v224, v255 dst_sel:DWORD dst_unused:UNUSED_PAD src0_sel:DWORD src1_sel:WORD_0
	v_mov_b32_e32 v255, v2
	v_fma_f64 v[192:193], v[192:193], 2.0, -v[72:73]
	v_add_f64 v[200:201], v[230:231], v[200:201]
	v_fma_f64 v[190:191], v[190:191], 2.0, -v[230:231]
	v_fma_f64 v[216:217], v[50:51], s[2:3], v[74:75]
	v_fma_f64 v[50:51], v[50:51], s[2:3], v[208:209]
	v_add_f64 v[74:75], v[204:205], v[68:69]
	v_fma_f64 v[186:187], v[218:219], s[0:1], v[48:49]
	v_fma_f64 v[48:49], v[72:73], s[0:1], v[246:247]
	v_fma_f64 v[218:219], v[188:189], 2.0, -v[246:247]
	v_fma_f64 v[244:245], v[244:245], 2.0, -v[228:229]
	;; [unrolled: 1-line block ×3, first 2 shown]
	v_add_f64 v[202:203], v[178:179], -v[76:77]
	v_fma_f64 v[206:207], v[214:215], 2.0, -v[222:223]
	v_fma_f64 v[230:231], v[230:231], 2.0, -v[200:201]
	;; [unrolled: 1-line block ×3, first 2 shown]
	v_fma_f64 v[248:249], v[198:199], s[0:1], v[50:51]
	v_fma_f64 v[198:199], v[74:75], s[0:1], v[200:201]
	v_fma_f64 v[204:205], v[68:69], 2.0, -v[74:75]
	v_fma_f64 v[50:51], v[74:75], s[2:3], v[48:49]
	v_fma_f64 v[68:69], v[196:197], s[8:9], v[220:221]
	v_fma_f64 v[232:233], v[208:209], 2.0, -v[248:249]
	;; [unrolled: 3-line block ×3, first 2 shown]
	v_fma_f64 v[70:71], v[78:79], s[10:11], v[68:69]
	v_fma_f64 v[78:79], v[204:205], s[2:3], v[230:231]
	;; [unrolled: 1-line block ×4, first 2 shown]
	v_add_f64 v[196:197], v[194:195], -v[182:183]
	v_fma_f64 v[182:183], v[222:223], s[16:17], v[216:217]
	v_fma_f64 v[74:75], v[204:205], s[2:3], v[72:73]
	;; [unrolled: 1-line block ×4, first 2 shown]
	v_add_f64 v[204:205], v[190:191], -v[180:181]
	v_add_f64 v[180:181], v[176:177], -v[184:185]
	v_fma_f64 v[78:79], v[188:189], s[10:11], v[250:251]
	v_fma_f64 v[210:211], v[194:195], 2.0, -v[196:197]
	v_fma_f64 v[184:185], v[186:187], s[16:17], v[248:249]
	s_mov_b32 s1, 0xbfed906b
	s_mov_b32 s0, s8
	v_fma_f64 v[194:195], v[206:207], s[0:1], v[252:253]
	v_fma_f64 v[208:209], v[230:231], 2.0, -v[72:73]
	v_fma_f64 v[76:77], v[188:189], s[8:9], v[192:193]
	v_fma_f64 v[188:189], v[212:213], 2.0, -v[186:187]
	v_fma_f64 v[192:193], v[178:179], 2.0, -v[202:203]
	;; [unrolled: 1-line block ×4, first 2 shown]
	v_fma_f64 v[178:179], v[186:187], s[0:1], v[182:183]
	v_add_f64 v[182:183], v[196:197], -v[180:181]
	v_add_f64 v[180:181], v[204:205], v[202:203]
	v_fma_f64 v[176:177], v[222:223], s[8:9], v[184:185]
	v_fma_f64 v[78:79], v[198:199], s[0:1], v[78:79]
	v_fma_f64 v[198:199], v[246:247], 2.0, -v[50:51]
	v_fma_f64 v[202:203], v[220:221], 2.0, -v[70:71]
	v_add_f64 v[186:187], v[210:211], -v[192:193]
	v_fma_f64 v[192:193], v[188:189], s[0:1], v[232:233]
	v_add_f64 v[184:185], v[212:213], -v[190:191]
	v_fma_f64 v[190:191], v[188:189], s[10:11], v[194:195]
	v_fma_f64 v[194:195], v[196:197], 2.0, -v[182:183]
	v_fma_f64 v[196:197], v[200:201], 2.0, -v[48:49]
	;; [unrolled: 1-line block ×4, first 2 shown]
	v_fma_f64 v[188:189], v[206:207], s[16:17], v[192:193]
	v_fma_f64 v[192:193], v[204:205], 2.0, -v[180:181]
	v_fma_f64 v[206:207], v[210:211], 2.0, -v[186:187]
	;; [unrolled: 1-line block ×9, first 2 shown]
	v_mov_b32_e32 v233, v243
	v_mov_b32_e32 v243, v1
	;; [unrolled: 1-line block ×9, first 2 shown]
	ds_write_b128 v224, v[180:183] offset:192
	ds_write_b128 v224, v[48:51] offset:224
	;; [unrolled: 1-line block ×9, first 2 shown]
	ds_write_b128 v224, v[204:207]
	ds_write_b128 v224, v[208:211] offset:32
	ds_write_b128 v224, v[212:215] offset:48
	;; [unrolled: 1-line block ×6, first 2 shown]
.LBB0_13:
	s_or_b32 exec_lo, exec_lo, s18
	s_waitcnt lgkmcnt(0)
	s_barrier
	buffer_gl0_inv
	ds_read_b128 v[48:51], v227 offset:20736
	ds_read_b128 v[68:71], v227 offset:41472
	;; [unrolled: 1-line block ×9, first 2 shown]
	s_clause 0x3
	buffer_load_dword v0, off, s[24:27], 0
	buffer_load_dword v1, off, s[24:27], 0 offset:4
	buffer_load_dword v2, off, s[24:27], 0 offset:8
	;; [unrolled: 1-line block ×3, first 2 shown]
	s_mov_b32 s0, 0xe8584caa
	s_mov_b32 s1, 0xbfebb67a
	;; [unrolled: 1-line block ×4, first 2 shown]
	s_waitcnt lgkmcnt(8)
	v_mul_f64 v[196:197], v[6:7], v[50:51]
	v_mul_f64 v[6:7], v[6:7], v[48:49]
	s_waitcnt lgkmcnt(6)
	v_mul_f64 v[200:201], v[22:23], v[74:75]
	s_waitcnt lgkmcnt(5)
	v_mul_f64 v[202:203], v[18:19], v[78:79]
	v_mul_f64 v[22:23], v[22:23], v[72:73]
	v_mul_f64 v[18:19], v[18:19], v[76:77]
	s_waitcnt lgkmcnt(4)
	v_mul_f64 v[204:205], v[14:15], v[178:179]
	s_waitcnt lgkmcnt(3)
	v_mul_f64 v[206:207], v[10:11], v[182:183]
	v_mul_f64 v[14:15], v[14:15], v[176:177]
	v_mul_f64 v[10:11], v[10:11], v[180:181]
	s_waitcnt lgkmcnt(2)
	v_mul_f64 v[208:209], v[30:31], v[186:187]
	s_waitcnt lgkmcnt(1)
	v_mul_f64 v[210:211], v[26:27], v[190:191]
	v_mul_f64 v[30:31], v[30:31], v[184:185]
	v_mul_f64 v[26:27], v[26:27], v[188:189]
	v_fma_f64 v[48:49], v[4:5], v[48:49], v[196:197]
	v_fma_f64 v[50:51], v[4:5], v[50:51], -v[6:7]
	v_fma_f64 v[72:73], v[20:21], v[72:73], v[200:201]
	v_fma_f64 v[76:77], v[16:17], v[76:77], v[202:203]
	v_fma_f64 v[20:21], v[20:21], v[74:75], -v[22:23]
	v_fma_f64 v[16:17], v[16:17], v[78:79], -v[18:19]
	v_fma_f64 v[18:19], v[12:13], v[176:177], v[204:205]
	v_fma_f64 v[22:23], v[8:9], v[180:181], v[206:207]
	v_fma_f64 v[12:13], v[12:13], v[178:179], -v[14:15]
	;; [unrolled: 4-line block ×3, first 2 shown]
	v_fma_f64 v[24:25], v[24:25], v[190:191], -v[26:27]
	v_add_f64 v[176:177], v[72:73], v[76:77]
	v_add_f64 v[178:179], v[20:21], v[16:17]
	v_add_f64 v[208:209], v[20:21], -v[16:17]
	v_add_f64 v[180:181], v[18:19], v[22:23]
	v_add_f64 v[212:213], v[18:19], -v[22:23]
	;; [unrolled: 2-line block ×3, first 2 shown]
	v_add_f64 v[188:189], v[74:75], v[78:79]
	s_waitcnt lgkmcnt(0)
	v_add_f64 v[206:207], v[194:195], v[28:29]
	v_add_f64 v[190:191], v[28:29], v[24:25]
	;; [unrolled: 1-line block ×3, first 2 shown]
	v_add_f64 v[214:215], v[28:29], -v[24:25]
	v_add_f64 v[216:217], v[74:75], -v[78:79]
	v_fma_f64 v[74:75], v[188:189], -0.5, v[192:193]
	s_waitcnt vmcnt(0)
	v_mul_f64 v[198:199], v[2:3], v[70:71]
	v_mul_f64 v[2:3], v[2:3], v[68:69]
	v_fma_f64 v[68:69], v[0:1], v[68:69], v[198:199]
	v_fma_f64 v[70:71], v[0:1], v[70:71], -v[2:3]
	ds_read_b128 v[0:3], v227
	ds_read_b128 v[4:7], v227 offset:5184
	ds_read_b128 v[8:11], v227 offset:10368
	s_waitcnt lgkmcnt(0)
	s_barrier
	buffer_gl0_inv
	v_add_f64 v[198:199], v[6:7], v[20:21]
	v_add_f64 v[26:27], v[48:49], v[68:69]
	;; [unrolled: 1-line block ×4, first 2 shown]
	v_add_f64 v[186:187], v[50:51], -v[70:71]
	v_add_f64 v[50:51], v[2:3], v[50:51]
	v_add_f64 v[48:49], v[48:49], -v[68:69]
	v_add_f64 v[200:201], v[8:9], v[18:19]
	v_add_f64 v[196:197], v[4:5], v[72:73]
	;; [unrolled: 1-line block ×3, first 2 shown]
	v_add_f64 v[72:73], v[72:73], -v[76:77]
	v_fma_f64 v[176:177], v[176:177], -0.5, v[4:5]
	v_fma_f64 v[178:179], v[178:179], -0.5, v[6:7]
	;; [unrolled: 1-line block ×4, first 2 shown]
	v_add_f64 v[12:13], v[204:205], v[78:79]
	v_add_f64 v[6:7], v[198:199], v[16:17]
	v_fma_f64 v[26:27], v[26:27], -0.5, v[0:1]
	v_fma_f64 v[30:31], v[30:31], -0.5, v[2:3]
	v_add_f64 v[0:1], v[182:183], v[68:69]
	v_fma_f64 v[182:183], v[190:191], -0.5, v[194:195]
	v_add_f64 v[2:3], v[50:51], v[70:71]
	v_add_f64 v[8:9], v[200:201], v[22:23]
	;; [unrolled: 1-line block ×5, first 2 shown]
	v_fma_f64 v[24:25], v[208:209], s[0:1], v[176:177]
	v_fma_f64 v[28:29], v[208:209], s[2:3], v[176:177]
	;; [unrolled: 1-line block ×16, first 2 shown]
	ds_write_b128 v232, v[0:3]
	ds_write_b128 v232, v[16:19] offset:256
	ds_write_b128 v232, v[20:23] offset:512
	ds_write_b128 v233, v[4:7]
	ds_write_b128 v233, v[24:27] offset:256
	ds_write_b128 v233, v[28:31] offset:512
	;; [unrolled: 3-line block ×4, first 2 shown]
	s_waitcnt lgkmcnt(0)
	s_barrier
	buffer_gl0_inv
	ds_read_b128 v[0:3], v227 offset:20736
	ds_read_b128 v[4:7], v227 offset:41472
	;; [unrolled: 1-line block ×9, first 2 shown]
	s_waitcnt lgkmcnt(8)
	v_mul_f64 v[70:71], v[46:47], v[2:3]
	s_waitcnt lgkmcnt(7)
	v_mul_f64 v[72:73], v[34:35], v[6:7]
	v_mul_f64 v[46:47], v[46:47], v[0:1]
	v_mul_f64 v[34:35], v[34:35], v[4:5]
	s_waitcnt lgkmcnt(6)
	v_mul_f64 v[74:75], v[42:43], v[10:11]
	s_waitcnt lgkmcnt(5)
	v_mul_f64 v[76:77], v[38:39], v[14:15]
	v_mul_f64 v[42:43], v[42:43], v[8:9]
	v_mul_f64 v[38:39], v[38:39], v[12:13]
	;; [unrolled: 6-line block ×4, first 2 shown]
	ds_read_b128 v[66:69], v227
	v_fma_f64 v[70:71], v[44:45], v[0:1], v[70:71]
	v_fma_f64 v[72:73], v[32:33], v[4:5], v[72:73]
	v_fma_f64 v[44:45], v[44:45], v[2:3], -v[46:47]
	v_fma_f64 v[32:33], v[32:33], v[6:7], -v[34:35]
	v_fma_f64 v[8:9], v[40:41], v[8:9], v[74:75]
	v_fma_f64 v[12:13], v[36:37], v[12:13], v[76:77]
	v_fma_f64 v[10:11], v[40:41], v[10:11], -v[42:43]
	v_fma_f64 v[14:15], v[36:37], v[14:15], -v[38:39]
	;; [unrolled: 4-line block ×4, first 2 shown]
	ds_read_b128 v[0:3], v227 offset:5184
	ds_read_b128 v[4:7], v227 offset:10368
	s_waitcnt lgkmcnt(0)
	s_barrier
	buffer_gl0_inv
	v_add_f64 v[46:47], v[66:67], v[70:71]
	v_add_f64 v[34:35], v[70:71], v[72:73]
	v_add_f64 v[60:61], v[70:71], -v[72:73]
	v_add_f64 v[36:37], v[44:45], v[32:33]
	v_add_f64 v[54:55], v[44:45], -v[32:33]
	v_add_f64 v[38:39], v[8:9], v[12:13]
	v_add_f64 v[44:45], v[68:69], v[44:45]
	;; [unrolled: 1-line block ×4, first 2 shown]
	v_add_f64 v[178:179], v[16:17], -v[20:21]
	v_add_f64 v[52:53], v[18:19], v[22:23]
	v_add_f64 v[76:77], v[48:49], v[24:25]
	;; [unrolled: 1-line block ×9, first 2 shown]
	v_add_f64 v[176:177], v[18:19], -v[22:23]
	v_add_f64 v[180:181], v[26:27], -v[30:31]
	v_add_f64 v[182:183], v[24:25], -v[28:29]
	v_fma_f64 v[34:35], v[34:35], -0.5, v[66:67]
	v_add_f64 v[66:67], v[10:11], -v[14:15]
	v_fma_f64 v[36:37], v[36:37], -0.5, v[68:69]
	v_add_f64 v[68:69], v[8:9], -v[12:13]
	v_fma_f64 v[38:39], v[38:39], -0.5, v[0:1]
	v_add_f64 v[0:1], v[46:47], v[72:73]
	v_fma_f64 v[40:41], v[40:41], -0.5, v[2:3]
	v_add_f64 v[2:3], v[44:45], v[32:33]
	v_fma_f64 v[42:43], v[42:43], -0.5, v[4:5]
	v_fma_f64 v[52:53], v[52:53], -0.5, v[6:7]
	;; [unrolled: 1-line block ×3, first 2 shown]
	v_add_f64 v[8:9], v[70:71], v[20:21]
	v_fma_f64 v[46:47], v[58:59], -0.5, v[50:51]
	v_add_f64 v[10:11], v[74:75], v[22:23]
	v_add_f64 v[4:5], v[62:63], v[12:13]
	;; [unrolled: 1-line block ×5, first 2 shown]
	v_fma_f64 v[16:17], v[54:55], s[0:1], v[34:35]
	v_fma_f64 v[20:21], v[54:55], s[2:3], v[34:35]
	;; [unrolled: 1-line block ×16, first 2 shown]
	ds_write_b128 v239, v[0:3]
	ds_write_b128 v239, v[16:19] offset:768
	ds_write_b128 v239, v[20:23] offset:1536
	ds_write_b128 v237, v[4:7]
	ds_write_b128 v237, v[24:27] offset:768
	ds_write_b128 v237, v[28:31] offset:1536
	ds_write_b128 v236, v[8:11]
	ds_write_b128 v236, v[32:35] offset:768
	ds_write_b128 v236, v[36:39] offset:1536
	ds_write_b128 v238, v[12:15]
	ds_write_b128 v238, v[40:43] offset:768
	ds_write_b128 v238, v[44:47] offset:1536
	s_waitcnt lgkmcnt(0)
	s_barrier
	buffer_gl0_inv
	ds_read_b128 v[0:3], v227 offset:20736
	ds_read_b128 v[4:7], v227 offset:41472
	;; [unrolled: 1-line block ×9, first 2 shown]
	ds_read_b128 v[36:39], v227
	s_waitcnt lgkmcnt(9)
	v_mul_f64 v[40:41], v[82:83], v[2:3]
	s_waitcnt lgkmcnt(8)
	v_mul_f64 v[42:43], v[90:91], v[6:7]
	v_mul_f64 v[44:45], v[82:83], v[0:1]
	v_mul_f64 v[46:47], v[90:91], v[4:5]
	s_waitcnt lgkmcnt(7)
	v_mul_f64 v[48:49], v[86:87], v[10:11]
	s_waitcnt lgkmcnt(6)
	v_mul_f64 v[50:51], v[94:95], v[14:15]
	v_mul_f64 v[52:53], v[86:87], v[8:9]
	v_mul_f64 v[54:55], v[94:95], v[12:13]
	;; [unrolled: 6-line block ×4, first 2 shown]
	v_fma_f64 v[40:41], v[80:81], v[0:1], v[40:41]
	v_fma_f64 v[42:43], v[88:89], v[4:5], v[42:43]
	v_fma_f64 v[44:45], v[80:81], v[2:3], -v[44:45]
	v_fma_f64 v[46:47], v[88:89], v[6:7], -v[46:47]
	v_fma_f64 v[8:9], v[84:85], v[8:9], v[48:49]
	v_fma_f64 v[12:13], v[92:93], v[12:13], v[50:51]
	v_fma_f64 v[10:11], v[84:85], v[10:11], -v[52:53]
	v_fma_f64 v[14:15], v[92:93], v[14:15], -v[54:55]
	;; [unrolled: 4-line block ×4, first 2 shown]
	ds_read_b128 v[0:3], v227 offset:5184
	ds_read_b128 v[4:7], v227 offset:10368
	s_waitcnt lgkmcnt(0)
	s_barrier
	buffer_gl0_inv
	v_add_f64 v[58:59], v[36:37], v[40:41]
	v_add_f64 v[48:49], v[40:41], v[42:43]
	v_add_f64 v[40:41], v[40:41], -v[42:43]
	v_add_f64 v[50:51], v[44:45], v[46:47]
	v_add_f64 v[62:63], v[44:45], -v[46:47]
	v_add_f64 v[52:53], v[8:9], v[12:13]
	v_add_f64 v[44:45], v[38:39], v[44:45]
	;; [unrolled: 1-line block ×4, first 2 shown]
	v_add_f64 v[82:83], v[16:17], -v[20:21]
	v_add_f64 v[60:61], v[18:19], v[22:23]
	v_add_f64 v[76:77], v[32:33], v[24:25]
	;; [unrolled: 1-line block ×9, first 2 shown]
	v_add_f64 v[80:81], v[18:19], -v[22:23]
	v_add_f64 v[84:85], v[26:27], -v[30:31]
	v_add_f64 v[86:87], v[24:25], -v[28:29]
	v_fma_f64 v[36:37], v[48:49], -0.5, v[36:37]
	v_add_f64 v[48:49], v[10:11], -v[14:15]
	v_fma_f64 v[38:39], v[50:51], -0.5, v[38:39]
	v_add_f64 v[50:51], v[8:9], -v[12:13]
	v_fma_f64 v[52:53], v[52:53], -0.5, v[0:1]
	v_add_f64 v[0:1], v[58:59], v[42:43]
	v_fma_f64 v[54:55], v[54:55], -0.5, v[2:3]
	v_add_f64 v[2:3], v[44:45], v[46:47]
	v_fma_f64 v[56:57], v[56:57], -0.5, v[4:5]
	v_fma_f64 v[60:61], v[60:61], -0.5, v[6:7]
	;; [unrolled: 1-line block ×3, first 2 shown]
	v_add_f64 v[8:9], v[72:73], v[20:21]
	v_fma_f64 v[58:59], v[66:67], -0.5, v[34:35]
	v_add_f64 v[10:11], v[74:75], v[22:23]
	v_add_f64 v[4:5], v[68:69], v[12:13]
	;; [unrolled: 1-line block ×5, first 2 shown]
	v_fma_f64 v[16:17], v[62:63], s[0:1], v[36:37]
	v_fma_f64 v[20:21], v[62:63], s[2:3], v[36:37]
	;; [unrolled: 1-line block ×16, first 2 shown]
	ds_write_b128 v240, v[0:3]
	ds_write_b128 v240, v[16:19] offset:2304
	ds_write_b128 v240, v[20:23] offset:4608
	ds_write_b128 v243, v[4:7]
	ds_write_b128 v243, v[24:27] offset:2304
	ds_write_b128 v243, v[28:31] offset:4608
	;; [unrolled: 3-line block ×4, first 2 shown]
	s_waitcnt lgkmcnt(0)
	s_barrier
	buffer_gl0_inv
	ds_read_b128 v[0:3], v227 offset:20736
	ds_read_b128 v[4:7], v227 offset:41472
	;; [unrolled: 1-line block ×9, first 2 shown]
	ds_read_b128 v[36:39], v227
	s_waitcnt lgkmcnt(9)
	v_mul_f64 v[40:41], v[114:115], v[2:3]
	s_waitcnt lgkmcnt(8)
	v_mul_f64 v[42:43], v[118:119], v[6:7]
	v_mul_f64 v[44:45], v[114:115], v[0:1]
	;; [unrolled: 1-line block ×3, first 2 shown]
	s_waitcnt lgkmcnt(7)
	v_mul_f64 v[48:49], v[122:123], v[10:11]
	s_waitcnt lgkmcnt(6)
	v_mul_f64 v[50:51], v[126:127], v[14:15]
	v_mul_f64 v[52:53], v[122:123], v[8:9]
	;; [unrolled: 1-line block ×3, first 2 shown]
	s_waitcnt lgkmcnt(5)
	v_mul_f64 v[56:57], v[130:131], v[18:19]
	v_mul_f64 v[60:61], v[130:131], v[16:17]
	s_waitcnt lgkmcnt(4)
	v_mul_f64 v[58:59], v[134:135], v[22:23]
	v_mul_f64 v[62:63], v[134:135], v[20:21]
	s_waitcnt lgkmcnt(3)
	v_mul_f64 v[68:69], v[146:147], v[24:25]
	s_waitcnt lgkmcnt(2)
	v_mul_f64 v[70:71], v[150:151], v[28:29]
	v_mul_f64 v[64:65], v[146:147], v[26:27]
	;; [unrolled: 1-line block ×3, first 2 shown]
	v_fma_f64 v[40:41], v[112:113], v[0:1], v[40:41]
	v_fma_f64 v[42:43], v[116:117], v[4:5], v[42:43]
	v_fma_f64 v[44:45], v[112:113], v[2:3], -v[44:45]
	v_fma_f64 v[46:47], v[116:117], v[6:7], -v[46:47]
	v_fma_f64 v[8:9], v[120:121], v[8:9], v[48:49]
	v_fma_f64 v[12:13], v[124:125], v[12:13], v[50:51]
	v_fma_f64 v[10:11], v[120:121], v[10:11], -v[52:53]
	v_fma_f64 v[14:15], v[124:125], v[14:15], -v[54:55]
	v_fma_f64 v[16:17], v[128:129], v[16:17], v[56:57]
	v_fma_f64 v[18:19], v[128:129], v[18:19], -v[60:61]
	ds_read_b128 v[0:3], v227 offset:5184
	ds_read_b128 v[4:7], v227 offset:10368
	v_fma_f64 v[20:21], v[132:133], v[20:21], v[58:59]
	v_fma_f64 v[22:23], v[132:133], v[22:23], -v[62:63]
	v_fma_f64 v[26:27], v[144:145], v[26:27], -v[68:69]
	;; [unrolled: 1-line block ×3, first 2 shown]
	s_waitcnt lgkmcnt(0)
	s_barrier
	buffer_gl0_inv
	v_fma_f64 v[24:25], v[144:145], v[24:25], v[64:65]
	v_fma_f64 v[28:29], v[148:149], v[28:29], v[66:67]
	v_add_f64 v[58:59], v[36:37], v[40:41]
	v_add_f64 v[48:49], v[40:41], v[42:43]
	v_add_f64 v[40:41], v[40:41], -v[42:43]
	v_add_f64 v[50:51], v[44:45], v[46:47]
	v_add_f64 v[62:63], v[44:45], -v[46:47]
	v_add_f64 v[52:53], v[8:9], v[12:13]
	v_add_f64 v[44:45], v[38:39], v[44:45]
	;; [unrolled: 1-line block ×9, first 2 shown]
	v_add_f64 v[80:81], v[18:19], -v[22:23]
	v_add_f64 v[82:83], v[16:17], -v[20:21]
	v_add_f64 v[78:79], v[34:35], v[26:27]
	v_add_f64 v[66:67], v[26:27], v[30:31]
	;; [unrolled: 1-line block ×4, first 2 shown]
	v_add_f64 v[84:85], v[26:27], -v[30:31]
	v_add_f64 v[86:87], v[24:25], -v[28:29]
	v_fma_f64 v[36:37], v[48:49], -0.5, v[36:37]
	v_add_f64 v[48:49], v[10:11], -v[14:15]
	v_fma_f64 v[38:39], v[50:51], -0.5, v[38:39]
	;; [unrolled: 2-line block ×3, first 2 shown]
	v_add_f64 v[0:1], v[58:59], v[42:43]
	v_fma_f64 v[54:55], v[54:55], -0.5, v[2:3]
	v_add_f64 v[2:3], v[44:45], v[46:47]
	v_add_f64 v[8:9], v[72:73], v[20:21]
	;; [unrolled: 1-line block ×3, first 2 shown]
	v_fma_f64 v[56:57], v[56:57], -0.5, v[4:5]
	v_fma_f64 v[60:61], v[60:61], -0.5, v[6:7]
	v_add_f64 v[4:5], v[68:69], v[12:13]
	v_add_f64 v[6:7], v[70:71], v[14:15]
	;; [unrolled: 1-line block ×3, first 2 shown]
	v_fma_f64 v[58:59], v[66:67], -0.5, v[34:35]
	v_add_f64 v[12:13], v[76:77], v[28:29]
	v_fma_f64 v[64:65], v[64:65], -0.5, v[32:33]
	v_fma_f64 v[16:17], v[62:63], s[0:1], v[36:37]
	v_fma_f64 v[20:21], v[62:63], s[2:3], v[36:37]
	;; [unrolled: 1-line block ×4, first 2 shown]
	ds_write_b128 v227, v[0:3]
	ds_write_b128 v227, v[16:19] offset:6912
	ds_write_b128 v227, v[20:23] offset:13824
	buffer_load_dword v0, off, s[24:27], 0 offset:20 ; 4-byte Folded Reload
	v_fma_f64 v[24:25], v[48:49], s[0:1], v[52:53]
	v_fma_f64 v[26:27], v[50:51], s[2:3], v[54:55]
	v_fma_f64 v[28:29], v[48:49], s[2:3], v[52:53]
	v_fma_f64 v[30:31], v[50:51], s[0:1], v[54:55]
	v_fma_f64 v[32:33], v[80:81], s[0:1], v[56:57]
	v_fma_f64 v[34:35], v[82:83], s[2:3], v[60:61]
	v_fma_f64 v[36:37], v[80:81], s[2:3], v[56:57]
	v_fma_f64 v[38:39], v[82:83], s[0:1], v[60:61]
	v_fma_f64 v[40:41], v[84:85], s[0:1], v[64:65]
	v_fma_f64 v[42:43], v[86:87], s[2:3], v[58:59]
	v_fma_f64 v[44:45], v[84:85], s[2:3], v[64:65]
	v_fma_f64 v[46:47], v[86:87], s[0:1], v[58:59]
	s_waitcnt vmcnt(0)
	ds_write_b128 v0, v[4:7]
	ds_write_b128 v0, v[24:27] offset:6912
	ds_write_b128 v0, v[28:31] offset:13824
	buffer_load_dword v0, off, s[24:27], 0 offset:16 ; 4-byte Folded Reload
	s_waitcnt vmcnt(0)
	ds_write_b128 v0, v[8:11]
	ds_write_b128 v0, v[32:35] offset:6912
	ds_write_b128 v0, v[36:39] offset:13824
	;; [unrolled: 1-line block ×5, first 2 shown]
	s_waitcnt lgkmcnt(0)
	s_barrier
	buffer_gl0_inv
	ds_read_b128 v[0:3], v227 offset:20736
	ds_read_b128 v[4:7], v227 offset:41472
	;; [unrolled: 1-line block ×9, first 2 shown]
	ds_read_b128 v[36:39], v227
	s_waitcnt lgkmcnt(9)
	v_mul_f64 v[40:41], v[138:139], v[2:3]
	s_waitcnt lgkmcnt(8)
	v_mul_f64 v[42:43], v[142:143], v[6:7]
	v_mul_f64 v[44:45], v[138:139], v[0:1]
	v_mul_f64 v[46:47], v[142:143], v[4:5]
	s_waitcnt lgkmcnt(7)
	v_mul_f64 v[48:49], v[154:155], v[10:11]
	s_waitcnt lgkmcnt(6)
	v_mul_f64 v[50:51], v[158:159], v[14:15]
	v_mul_f64 v[52:53], v[154:155], v[8:9]
	v_mul_f64 v[54:55], v[158:159], v[12:13]
	;; [unrolled: 6-line block ×4, first 2 shown]
	v_fma_f64 v[40:41], v[136:137], v[0:1], v[40:41]
	v_fma_f64 v[42:43], v[140:141], v[4:5], v[42:43]
	v_fma_f64 v[44:45], v[136:137], v[2:3], -v[44:45]
	v_fma_f64 v[46:47], v[140:141], v[6:7], -v[46:47]
	v_fma_f64 v[8:9], v[152:153], v[8:9], v[48:49]
	v_fma_f64 v[12:13], v[156:157], v[12:13], v[50:51]
	v_fma_f64 v[10:11], v[152:153], v[10:11], -v[52:53]
	v_fma_f64 v[14:15], v[156:157], v[14:15], -v[54:55]
	;; [unrolled: 4-line block ×4, first 2 shown]
	ds_read_b128 v[0:3], v227 offset:5184
	ds_read_b128 v[4:7], v227 offset:10368
	s_waitcnt lgkmcnt(2)
	v_add_f64 v[58:59], v[36:37], v[40:41]
	v_add_f64 v[48:49], v[40:41], v[42:43]
	v_add_f64 v[40:41], v[40:41], -v[42:43]
	v_add_f64 v[50:51], v[44:45], v[46:47]
	v_add_f64 v[62:63], v[44:45], -v[46:47]
	v_add_f64 v[52:53], v[8:9], v[12:13]
	v_add_f64 v[44:45], v[38:39], v[44:45]
	;; [unrolled: 1-line block ×4, first 2 shown]
	v_add_f64 v[82:83], v[16:17], -v[20:21]
	v_add_f64 v[60:61], v[18:19], v[22:23]
	v_add_f64 v[76:77], v[32:33], v[24:25]
	;; [unrolled: 1-line block ×3, first 2 shown]
	s_waitcnt lgkmcnt(1)
	v_add_f64 v[68:69], v[0:1], v[8:9]
	v_add_f64 v[66:67], v[26:27], v[30:31]
	v_add_f64 v[70:71], v[2:3], v[10:11]
	s_waitcnt lgkmcnt(0)
	v_add_f64 v[72:73], v[4:5], v[16:17]
	v_add_f64 v[74:75], v[6:7], v[18:19]
	;; [unrolled: 1-line block ×3, first 2 shown]
	v_add_f64 v[80:81], v[18:19], -v[22:23]
	v_add_f64 v[84:85], v[26:27], -v[30:31]
	;; [unrolled: 1-line block ×3, first 2 shown]
	v_fma_f64 v[36:37], v[48:49], -0.5, v[36:37]
	v_add_f64 v[48:49], v[10:11], -v[14:15]
	v_fma_f64 v[38:39], v[50:51], -0.5, v[38:39]
	v_add_f64 v[50:51], v[8:9], -v[12:13]
	v_fma_f64 v[52:53], v[52:53], -0.5, v[0:1]
	v_add_f64 v[0:1], v[58:59], v[42:43]
	v_fma_f64 v[54:55], v[54:55], -0.5, v[2:3]
	v_add_f64 v[2:3], v[44:45], v[46:47]
	v_fma_f64 v[56:57], v[56:57], -0.5, v[4:5]
	v_fma_f64 v[60:61], v[60:61], -0.5, v[6:7]
	;; [unrolled: 1-line block ×3, first 2 shown]
	v_add_f64 v[4:5], v[68:69], v[12:13]
	v_fma_f64 v[58:59], v[66:67], -0.5, v[34:35]
	v_add_f64 v[6:7], v[70:71], v[14:15]
	v_add_f64 v[8:9], v[72:73], v[20:21]
	;; [unrolled: 1-line block ×5, first 2 shown]
	v_fma_f64 v[16:17], v[62:63], s[0:1], v[36:37]
	v_fma_f64 v[20:21], v[62:63], s[2:3], v[36:37]
	;; [unrolled: 1-line block ×16, first 2 shown]
	ds_write_b128 v227, v[0:3]
	ds_write_b128 v227, v[4:7] offset:5184
	ds_write_b128 v227, v[8:11] offset:10368
	ds_write_b128 v227, v[12:15] offset:15552
	ds_write_b128 v227, v[16:19] offset:20736
	ds_write_b128 v227, v[20:23] offset:41472
	ds_write_b128 v227, v[24:27] offset:25920
	ds_write_b128 v227, v[28:31] offset:46656
	ds_write_b128 v227, v[32:35] offset:31104
	ds_write_b128 v227, v[36:39] offset:51840
	ds_write_b128 v227, v[40:43] offset:36288
	ds_write_b128 v227, v[44:47] offset:57024
	s_waitcnt lgkmcnt(0)
	s_barrier
	buffer_gl0_inv
	s_and_b32 exec_lo, exec_lo, vcc_lo
	s_cbranch_execz .LBB0_15
; %bb.14:
	v_add_co_u32 v0, s0, s14, v225
	v_add_co_ci_u32_e64 v1, null, s15, 0, s0
	v_mad_u64_u32 v[54:55], null, s4, v226, 0
	v_add_co_u32 v6, vcc_lo, 0x800, v0
	v_add_co_ci_u32_e32 v7, vcc_lo, 0, v1, vcc_lo
	v_add_co_u32 v10, vcc_lo, 0x1800, v0
	v_add_co_ci_u32_e32 v11, vcc_lo, 0, v1, vcc_lo
	;; [unrolled: 2-line block ×8, first 2 shown]
	v_add_co_u32 v38, vcc_lo, 0x8800, v0
	s_clause 0x2
	global_load_dwordx4 v[2:5], v225, s[14:15]
	global_load_dwordx4 v[6:9], v[6:7], off offset:1840
	global_load_dwordx4 v[10:13], v[10:11], off offset:1632
	v_add_co_ci_u32_e32 v39, vcc_lo, 0, v1, vcc_lo
	v_add_co_u32 v42, vcc_lo, 0x9000, v0
	v_add_co_ci_u32_e32 v43, vcc_lo, 0, v1, vcc_lo
	v_add_co_u32 v46, vcc_lo, 0xa000, v0
	s_clause 0x5
	global_load_dwordx4 v[14:17], v[14:15], off offset:1424
	global_load_dwordx4 v[18:21], v[18:19], off offset:1216
	;; [unrolled: 1-line block ×6, first 2 shown]
	v_add_co_ci_u32_e32 v47, vcc_lo, 0, v1, vcc_lo
	s_clause 0x2
	global_load_dwordx4 v[38:41], v[38:39], off offset:176
	global_load_dwordx4 v[42:45], v[42:43], off offset:2016
	;; [unrolled: 1-line block ×3, first 2 shown]
	v_mad_u64_u32 v[50:51], null, s6, v254, 0
	v_mov_b32_e32 v52, v55
	s_mul_i32 s0, s5, 0xf30
	s_mul_hi_u32 s3, s4, 0xf30
	s_mul_i32 s2, s4, 0xf30
	s_add_i32 s3, s3, s0
	s_mov_b32 s0, 0xa88f4696
	v_mad_u64_u32 v[55:56], null, s7, v254, v[51:52]
	v_mad_u64_u32 v[52:53], null, s5, v226, v[52:53]
	s_mov_b32 s1, 0x3f30db20
	v_mov_b32_e32 v51, v55
	v_mov_b32_e32 v55, v52
	v_lshlrev_b64 v[56:57], 4, v[50:51]
	ds_read_b128 v[50:53], v227
	v_lshlrev_b64 v[54:55], 4, v[54:55]
	v_add_co_u32 v56, vcc_lo, s12, v56
	v_add_co_ci_u32_e32 v57, vcc_lo, s13, v57, vcc_lo
	v_add_co_u32 v106, vcc_lo, v56, v54
	v_add_co_ci_u32_e32 v107, vcc_lo, v57, v55, vcc_lo
	ds_read_b128 v[54:57], v225 offset:3888
	ds_read_b128 v[58:61], v225 offset:7776
	;; [unrolled: 1-line block ×13, first 2 shown]
	v_add_co_u32 v108, vcc_lo, v106, s2
	v_add_co_ci_u32_e32 v109, vcc_lo, s3, v107, vcc_lo
	v_add_co_u32 v110, vcc_lo, v108, s2
	v_add_co_ci_u32_e32 v111, vcc_lo, s3, v109, vcc_lo
	;; [unrolled: 2-line block ×9, first 2 shown]
	s_waitcnt vmcnt(11) lgkmcnt(13)
	v_mul_f64 v[126:127], v[52:53], v[4:5]
	v_mul_f64 v[4:5], v[50:51], v[4:5]
	s_waitcnt vmcnt(10) lgkmcnt(12)
	v_mul_f64 v[128:129], v[56:57], v[8:9]
	v_mul_f64 v[8:9], v[54:55], v[8:9]
	;; [unrolled: 3-line block ×5, first 2 shown]
	s_waitcnt vmcnt(6)
	v_mul_f64 v[136:137], v[68:69], v[24:25]
	v_mul_f64 v[24:25], v[66:67], v[24:25]
	s_waitcnt vmcnt(5)
	v_mul_f64 v[138:139], v[72:73], v[28:29]
	v_mul_f64 v[28:29], v[70:71], v[28:29]
	;; [unrolled: 3-line block ×3, first 2 shown]
	s_waitcnt vmcnt(3) lgkmcnt(5)
	v_mul_f64 v[142:143], v[84:85], v[36:37]
	v_mul_f64 v[36:37], v[82:83], v[36:37]
	s_waitcnt vmcnt(2) lgkmcnt(4)
	v_mul_f64 v[144:145], v[88:89], v[40:41]
	v_mul_f64 v[40:41], v[86:87], v[40:41]
	;; [unrolled: 3-line block ×4, first 2 shown]
	v_fma_f64 v[50:51], v[50:51], v[2:3], v[126:127]
	v_fma_f64 v[4:5], v[2:3], v[52:53], -v[4:5]
	v_fma_f64 v[52:53], v[54:55], v[6:7], v[128:129]
	v_fma_f64 v[8:9], v[6:7], v[56:57], -v[8:9]
	;; [unrolled: 2-line block ×12, first 2 shown]
	v_mul_f64 v[2:3], v[50:51], s[0:1]
	v_mul_f64 v[4:5], v[4:5], s[0:1]
	;; [unrolled: 1-line block ×24, first 2 shown]
	v_add_co_u32 v50, vcc_lo, v124, s2
	v_add_co_ci_u32_e32 v51, vcc_lo, s3, v125, vcc_lo
	v_add_co_u32 v52, vcc_lo, 0xb000, v0
	v_add_co_ci_u32_e32 v53, vcc_lo, 0, v1, vcc_lo
	;; [unrolled: 2-line block ×3, first 2 shown]
	global_store_dwordx4 v[106:107], v[2:5], off
	global_store_dwordx4 v[108:109], v[6:9], off
	;; [unrolled: 1-line block ×12, first 2 shown]
	global_load_dwordx4 v[2:5], v[52:53], off offset:1600
	s_waitcnt vmcnt(0)
	v_mul_f64 v[6:7], v[96:97], v[4:5]
	v_mul_f64 v[4:5], v[94:95], v[4:5]
	v_fma_f64 v[6:7], v[94:95], v[2:3], v[6:7]
	v_fma_f64 v[4:5], v[2:3], v[96:97], -v[4:5]
	v_mul_f64 v[2:3], v[6:7], s[0:1]
	v_mul_f64 v[4:5], v[4:5], s[0:1]
	v_add_co_u32 v6, vcc_lo, v54, s2
	v_add_co_ci_u32_e32 v7, vcc_lo, s3, v55, vcc_lo
	v_add_co_u32 v8, vcc_lo, 0xc000, v0
	v_add_co_ci_u32_e32 v9, vcc_lo, 0, v1, vcc_lo
	;; [unrolled: 2-line block ×3, first 2 shown]
	global_store_dwordx4 v[6:7], v[2:5], off
	global_load_dwordx4 v[2:5], v[8:9], off offset:1392
	v_add_co_u32 v6, vcc_lo, 0xd000, v0
	v_add_co_ci_u32_e32 v7, vcc_lo, 0, v1, vcc_lo
	s_waitcnt vmcnt(0) lgkmcnt(0)
	v_mul_f64 v[8:9], v[104:105], v[4:5]
	v_mul_f64 v[4:5], v[102:103], v[4:5]
	v_fma_f64 v[8:9], v[102:103], v[2:3], v[8:9]
	v_fma_f64 v[4:5], v[2:3], v[104:105], -v[4:5]
	v_mul_f64 v[2:3], v[8:9], s[0:1]
	v_mul_f64 v[4:5], v[4:5], s[0:1]
	global_store_dwordx4 v[14:15], v[2:5], off
	global_load_dwordx4 v[2:5], v[6:7], off offset:1184
	ds_read_b128 v[6:9], v225 offset:54432
	ds_read_b128 v[10:13], v225 offset:58320
	s_waitcnt vmcnt(0) lgkmcnt(1)
	v_mul_f64 v[16:17], v[8:9], v[4:5]
	v_mul_f64 v[4:5], v[6:7], v[4:5]
	v_fma_f64 v[6:7], v[6:7], v[2:3], v[16:17]
	v_fma_f64 v[4:5], v[2:3], v[8:9], -v[4:5]
	v_mul_f64 v[2:3], v[6:7], s[0:1]
	v_mul_f64 v[4:5], v[4:5], s[0:1]
	v_add_co_u32 v6, vcc_lo, v14, s2
	v_add_co_ci_u32_e32 v7, vcc_lo, s3, v15, vcc_lo
	v_add_co_u32 v0, vcc_lo, 0xe000, v0
	v_add_co_ci_u32_e32 v1, vcc_lo, 0, v1, vcc_lo
	global_store_dwordx4 v[6:7], v[2:5], off
	global_load_dwordx4 v[0:3], v[0:1], off offset:976
	s_waitcnt vmcnt(0) lgkmcnt(0)
	v_mul_f64 v[4:5], v[12:13], v[2:3]
	v_mul_f64 v[2:3], v[10:11], v[2:3]
	v_fma_f64 v[4:5], v[10:11], v[0:1], v[4:5]
	v_fma_f64 v[2:3], v[0:1], v[12:13], -v[2:3]
	v_mul_f64 v[0:1], v[4:5], s[0:1]
	v_mul_f64 v[2:3], v[2:3], s[0:1]
	v_add_co_u32 v4, vcc_lo, v6, s2
	v_add_co_ci_u32_e32 v5, vcc_lo, s3, v7, vcc_lo
	global_store_dwordx4 v[4:5], v[0:3], off
.LBB0_15:
	s_endpgm
	.section	.rodata,"a",@progbits
	.p2align	6, 0x0
	.amdhsa_kernel bluestein_single_back_len3888_dim1_dp_op_CI_CI
		.amdhsa_group_segment_fixed_size 62208
		.amdhsa_private_segment_fixed_size 28
		.amdhsa_kernarg_size 104
		.amdhsa_user_sgpr_count 6
		.amdhsa_user_sgpr_private_segment_buffer 1
		.amdhsa_user_sgpr_dispatch_ptr 0
		.amdhsa_user_sgpr_queue_ptr 0
		.amdhsa_user_sgpr_kernarg_segment_ptr 1
		.amdhsa_user_sgpr_dispatch_id 0
		.amdhsa_user_sgpr_flat_scratch_init 0
		.amdhsa_user_sgpr_private_segment_size 0
		.amdhsa_wavefront_size32 1
		.amdhsa_uses_dynamic_stack 0
		.amdhsa_system_sgpr_private_segment_wavefront_offset 1
		.amdhsa_system_sgpr_workgroup_id_x 1
		.amdhsa_system_sgpr_workgroup_id_y 0
		.amdhsa_system_sgpr_workgroup_id_z 0
		.amdhsa_system_sgpr_workgroup_info 0
		.amdhsa_system_vgpr_workitem_id 0
		.amdhsa_next_free_vgpr 256
		.amdhsa_next_free_sgpr 28
		.amdhsa_reserve_vcc 1
		.amdhsa_reserve_flat_scratch 0
		.amdhsa_float_round_mode_32 0
		.amdhsa_float_round_mode_16_64 0
		.amdhsa_float_denorm_mode_32 3
		.amdhsa_float_denorm_mode_16_64 3
		.amdhsa_dx10_clamp 1
		.amdhsa_ieee_mode 1
		.amdhsa_fp16_overflow 0
		.amdhsa_workgroup_processor_mode 1
		.amdhsa_memory_ordered 1
		.amdhsa_forward_progress 0
		.amdhsa_shared_vgpr_count 0
		.amdhsa_exception_fp_ieee_invalid_op 0
		.amdhsa_exception_fp_denorm_src 0
		.amdhsa_exception_fp_ieee_div_zero 0
		.amdhsa_exception_fp_ieee_overflow 0
		.amdhsa_exception_fp_ieee_underflow 0
		.amdhsa_exception_fp_ieee_inexact 0
		.amdhsa_exception_int_div_zero 0
	.end_amdhsa_kernel
	.text
.Lfunc_end0:
	.size	bluestein_single_back_len3888_dim1_dp_op_CI_CI, .Lfunc_end0-bluestein_single_back_len3888_dim1_dp_op_CI_CI
                                        ; -- End function
	.section	.AMDGPU.csdata,"",@progbits
; Kernel info:
; codeLenInByte = 19904
; NumSgprs: 30
; NumVgprs: 256
; ScratchSize: 28
; MemoryBound: 0
; FloatMode: 240
; IeeeMode: 1
; LDSByteSize: 62208 bytes/workgroup (compile time only)
; SGPRBlocks: 3
; VGPRBlocks: 31
; NumSGPRsForWavesPerEU: 30
; NumVGPRsForWavesPerEU: 256
; Occupancy: 4
; WaveLimiterHint : 1
; COMPUTE_PGM_RSRC2:SCRATCH_EN: 1
; COMPUTE_PGM_RSRC2:USER_SGPR: 6
; COMPUTE_PGM_RSRC2:TRAP_HANDLER: 0
; COMPUTE_PGM_RSRC2:TGID_X_EN: 1
; COMPUTE_PGM_RSRC2:TGID_Y_EN: 0
; COMPUTE_PGM_RSRC2:TGID_Z_EN: 0
; COMPUTE_PGM_RSRC2:TIDIG_COMP_CNT: 0
	.text
	.p2alignl 6, 3214868480
	.fill 48, 4, 3214868480
	.type	__hip_cuid_6e0ea2c9bdd84b3a,@object ; @__hip_cuid_6e0ea2c9bdd84b3a
	.section	.bss,"aw",@nobits
	.globl	__hip_cuid_6e0ea2c9bdd84b3a
__hip_cuid_6e0ea2c9bdd84b3a:
	.byte	0                               ; 0x0
	.size	__hip_cuid_6e0ea2c9bdd84b3a, 1

	.ident	"AMD clang version 19.0.0git (https://github.com/RadeonOpenCompute/llvm-project roc-6.4.0 25133 c7fe45cf4b819c5991fe208aaa96edf142730f1d)"
	.section	".note.GNU-stack","",@progbits
	.addrsig
	.addrsig_sym __hip_cuid_6e0ea2c9bdd84b3a
	.amdgpu_metadata
---
amdhsa.kernels:
  - .args:
      - .actual_access:  read_only
        .address_space:  global
        .offset:         0
        .size:           8
        .value_kind:     global_buffer
      - .actual_access:  read_only
        .address_space:  global
        .offset:         8
        .size:           8
        .value_kind:     global_buffer
      - .actual_access:  read_only
        .address_space:  global
        .offset:         16
        .size:           8
        .value_kind:     global_buffer
      - .actual_access:  read_only
        .address_space:  global
        .offset:         24
        .size:           8
        .value_kind:     global_buffer
      - .actual_access:  read_only
        .address_space:  global
        .offset:         32
        .size:           8
        .value_kind:     global_buffer
      - .offset:         40
        .size:           8
        .value_kind:     by_value
      - .address_space:  global
        .offset:         48
        .size:           8
        .value_kind:     global_buffer
      - .address_space:  global
        .offset:         56
        .size:           8
        .value_kind:     global_buffer
      - .address_space:  global
        .offset:         64
        .size:           8
        .value_kind:     global_buffer
      - .address_space:  global
        .offset:         72
        .size:           8
        .value_kind:     global_buffer
      - .offset:         80
        .size:           4
        .value_kind:     by_value
      - .address_space:  global
        .offset:         88
        .size:           8
        .value_kind:     global_buffer
      - .address_space:  global
        .offset:         96
        .size:           8
        .value_kind:     global_buffer
    .group_segment_fixed_size: 62208
    .kernarg_segment_align: 8
    .kernarg_segment_size: 104
    .language:       OpenCL C
    .language_version:
      - 2
      - 0
    .max_flat_workgroup_size: 324
    .name:           bluestein_single_back_len3888_dim1_dp_op_CI_CI
    .private_segment_fixed_size: 28
    .sgpr_count:     30
    .sgpr_spill_count: 0
    .symbol:         bluestein_single_back_len3888_dim1_dp_op_CI_CI.kd
    .uniform_work_group_size: 1
    .uses_dynamic_stack: false
    .vgpr_count:     256
    .vgpr_spill_count: 6
    .wavefront_size: 32
    .workgroup_processor_mode: 1
amdhsa.target:   amdgcn-amd-amdhsa--gfx1030
amdhsa.version:
  - 1
  - 2
...

	.end_amdgpu_metadata
